;; amdgpu-corpus repo=ROCm/composable_kernel kind=compiled arch=gfx90a opt=O3
	.text
	.amdgcn_target "amdgcn-amd-amdhsa--gfx90a"
	.amdhsa_code_object_version 6
	.section	.text._ZN2ckL12flush_icacheEv,"axG",@progbits,_ZN2ckL12flush_icacheEv,comdat
	.globl	_ZN2ckL12flush_icacheEv         ; -- Begin function _ZN2ckL12flush_icacheEv
	.p2align	8
	.type	_ZN2ckL12flush_icacheEv,@function
_ZN2ckL12flush_icacheEv:                ; @_ZN2ckL12flush_icacheEv
; %bb.0:
	;;#ASMSTART
	s_icache_inv 
	s_nop 0 
	s_nop 0 
	;; [unrolled: 1-line block ×16, first 2 shown]
	
	;;#ASMEND
	s_endpgm
	.section	.rodata,"a",@progbits
	.p2align	6, 0x0
	.amdhsa_kernel _ZN2ckL12flush_icacheEv
		.amdhsa_group_segment_fixed_size 0
		.amdhsa_private_segment_fixed_size 0
		.amdhsa_kernarg_size 0
		.amdhsa_user_sgpr_count 4
		.amdhsa_user_sgpr_private_segment_buffer 1
		.amdhsa_user_sgpr_dispatch_ptr 0
		.amdhsa_user_sgpr_queue_ptr 0
		.amdhsa_user_sgpr_kernarg_segment_ptr 0
		.amdhsa_user_sgpr_dispatch_id 0
		.amdhsa_user_sgpr_flat_scratch_init 0
		.amdhsa_user_sgpr_kernarg_preload_length 0
		.amdhsa_user_sgpr_kernarg_preload_offset 0
		.amdhsa_user_sgpr_private_segment_size 0
		.amdhsa_uses_dynamic_stack 0
		.amdhsa_system_sgpr_private_segment_wavefront_offset 0
		.amdhsa_system_sgpr_workgroup_id_x 1
		.amdhsa_system_sgpr_workgroup_id_y 0
		.amdhsa_system_sgpr_workgroup_id_z 0
		.amdhsa_system_sgpr_workgroup_info 0
		.amdhsa_system_vgpr_workitem_id 0
		.amdhsa_next_free_vgpr 1
		.amdhsa_next_free_sgpr 0
		.amdhsa_accum_offset 4
		.amdhsa_reserve_vcc 0
		.amdhsa_reserve_flat_scratch 0
		.amdhsa_float_round_mode_32 0
		.amdhsa_float_round_mode_16_64 0
		.amdhsa_float_denorm_mode_32 3
		.amdhsa_float_denorm_mode_16_64 3
		.amdhsa_dx10_clamp 1
		.amdhsa_ieee_mode 1
		.amdhsa_fp16_overflow 0
		.amdhsa_tg_split 0
		.amdhsa_exception_fp_ieee_invalid_op 0
		.amdhsa_exception_fp_denorm_src 0
		.amdhsa_exception_fp_ieee_div_zero 0
		.amdhsa_exception_fp_ieee_overflow 0
		.amdhsa_exception_fp_ieee_underflow 0
		.amdhsa_exception_fp_ieee_inexact 0
		.amdhsa_exception_int_div_zero 0
	.end_amdhsa_kernel
	.section	.text._ZN2ckL12flush_icacheEv,"axG",@progbits,_ZN2ckL12flush_icacheEv,comdat
.Lfunc_end0:
	.size	_ZN2ckL12flush_icacheEv, .Lfunc_end0-_ZN2ckL12flush_icacheEv
                                        ; -- End function
	.section	.AMDGPU.csdata,"",@progbits
; Kernel info:
; codeLenInByte = 140
; NumSgprs: 4
; NumVgprs: 0
; NumAgprs: 0
; TotalNumVgprs: 0
; ScratchSize: 0
; MemoryBound: 0
; FloatMode: 240
; IeeeMode: 1
; LDSByteSize: 0 bytes/workgroup (compile time only)
; SGPRBlocks: 0
; VGPRBlocks: 0
; NumSGPRsForWavesPerEU: 4
; NumVGPRsForWavesPerEU: 1
; AccumOffset: 4
; Occupancy: 8
; WaveLimiterHint : 0
; COMPUTE_PGM_RSRC2:SCRATCH_EN: 0
; COMPUTE_PGM_RSRC2:USER_SGPR: 4
; COMPUTE_PGM_RSRC2:TRAP_HANDLER: 0
; COMPUTE_PGM_RSRC2:TGID_X_EN: 1
; COMPUTE_PGM_RSRC2:TGID_Y_EN: 0
; COMPUTE_PGM_RSRC2:TGID_Z_EN: 0
; COMPUTE_PGM_RSRC2:TIDIG_COMP_CNT: 0
; COMPUTE_PGM_RSRC3_GFX90A:ACCUM_OFFSET: 0
; COMPUTE_PGM_RSRC3_GFX90A:TG_SPLIT: 0
	.section	.text._ZN2ck27kernel_gemm_xdl_cshuffle_v3INS_28GridwiseGemm_xdl_cshuffle_v3INS_13tensor_layout4gemm8RowMajorENS3_11ColumnMajorES4_DF16_DF16_fDF16_DF16_NS_16tensor_operation12element_wise11PassThroughES8_S8_LNS6_6device18GemmSpecializationE4ELi64ELi32ELi32ELi256ELi8ELi8ELi16ELi16ELi2ELi2ENS_8SequenceIJLi32ELi2ELi1EEEENSB_IJLi1ELi0ELi2EEEESD_Li2ELi8ELi8ELb0ELi0ESC_SD_SD_Li2ELi8ELi8ELb0ELi0ELi1ELi1ENSB_IJLi1ELi16ELi1ELi4EEEELi4ELNS_26BlockGemmPipelineSchedulerE1ELNS_24BlockGemmPipelineVersionE1EDF16_DF16_Lb0ELb0ELb0ELi0ELb0EEELb1ELNS_25InMemoryDataOperationEnumE1ELi2ELNS_10TailNumberE2EEEvNT_8ArgumentE,"axG",@progbits,_ZN2ck27kernel_gemm_xdl_cshuffle_v3INS_28GridwiseGemm_xdl_cshuffle_v3INS_13tensor_layout4gemm8RowMajorENS3_11ColumnMajorES4_DF16_DF16_fDF16_DF16_NS_16tensor_operation12element_wise11PassThroughES8_S8_LNS6_6device18GemmSpecializationE4ELi64ELi32ELi32ELi256ELi8ELi8ELi16ELi16ELi2ELi2ENS_8SequenceIJLi32ELi2ELi1EEEENSB_IJLi1ELi0ELi2EEEESD_Li2ELi8ELi8ELb0ELi0ESC_SD_SD_Li2ELi8ELi8ELb0ELi0ELi1ELi1ENSB_IJLi1ELi16ELi1ELi4EEEELi4ELNS_26BlockGemmPipelineSchedulerE1ELNS_24BlockGemmPipelineVersionE1EDF16_DF16_Lb0ELb0ELb0ELi0ELb0EEELb1ELNS_25InMemoryDataOperationEnumE1ELi2ELNS_10TailNumberE2EEEvNT_8ArgumentE,comdat
	.protected	_ZN2ck27kernel_gemm_xdl_cshuffle_v3INS_28GridwiseGemm_xdl_cshuffle_v3INS_13tensor_layout4gemm8RowMajorENS3_11ColumnMajorES4_DF16_DF16_fDF16_DF16_NS_16tensor_operation12element_wise11PassThroughES8_S8_LNS6_6device18GemmSpecializationE4ELi64ELi32ELi32ELi256ELi8ELi8ELi16ELi16ELi2ELi2ENS_8SequenceIJLi32ELi2ELi1EEEENSB_IJLi1ELi0ELi2EEEESD_Li2ELi8ELi8ELb0ELi0ESC_SD_SD_Li2ELi8ELi8ELb0ELi0ELi1ELi1ENSB_IJLi1ELi16ELi1ELi4EEEELi4ELNS_26BlockGemmPipelineSchedulerE1ELNS_24BlockGemmPipelineVersionE1EDF16_DF16_Lb0ELb0ELb0ELi0ELb0EEELb1ELNS_25InMemoryDataOperationEnumE1ELi2ELNS_10TailNumberE2EEEvNT_8ArgumentE ; -- Begin function _ZN2ck27kernel_gemm_xdl_cshuffle_v3INS_28GridwiseGemm_xdl_cshuffle_v3INS_13tensor_layout4gemm8RowMajorENS3_11ColumnMajorES4_DF16_DF16_fDF16_DF16_NS_16tensor_operation12element_wise11PassThroughES8_S8_LNS6_6device18GemmSpecializationE4ELi64ELi32ELi32ELi256ELi8ELi8ELi16ELi16ELi2ELi2ENS_8SequenceIJLi32ELi2ELi1EEEENSB_IJLi1ELi0ELi2EEEESD_Li2ELi8ELi8ELb0ELi0ESC_SD_SD_Li2ELi8ELi8ELb0ELi0ELi1ELi1ENSB_IJLi1ELi16ELi1ELi4EEEELi4ELNS_26BlockGemmPipelineSchedulerE1ELNS_24BlockGemmPipelineVersionE1EDF16_DF16_Lb0ELb0ELb0ELi0ELb0EEELb1ELNS_25InMemoryDataOperationEnumE1ELi2ELNS_10TailNumberE2EEEvNT_8ArgumentE
	.globl	_ZN2ck27kernel_gemm_xdl_cshuffle_v3INS_28GridwiseGemm_xdl_cshuffle_v3INS_13tensor_layout4gemm8RowMajorENS3_11ColumnMajorES4_DF16_DF16_fDF16_DF16_NS_16tensor_operation12element_wise11PassThroughES8_S8_LNS6_6device18GemmSpecializationE4ELi64ELi32ELi32ELi256ELi8ELi8ELi16ELi16ELi2ELi2ENS_8SequenceIJLi32ELi2ELi1EEEENSB_IJLi1ELi0ELi2EEEESD_Li2ELi8ELi8ELb0ELi0ESC_SD_SD_Li2ELi8ELi8ELb0ELi0ELi1ELi1ENSB_IJLi1ELi16ELi1ELi4EEEELi4ELNS_26BlockGemmPipelineSchedulerE1ELNS_24BlockGemmPipelineVersionE1EDF16_DF16_Lb0ELb0ELb0ELi0ELb0EEELb1ELNS_25InMemoryDataOperationEnumE1ELi2ELNS_10TailNumberE2EEEvNT_8ArgumentE
	.p2align	8
	.type	_ZN2ck27kernel_gemm_xdl_cshuffle_v3INS_28GridwiseGemm_xdl_cshuffle_v3INS_13tensor_layout4gemm8RowMajorENS3_11ColumnMajorES4_DF16_DF16_fDF16_DF16_NS_16tensor_operation12element_wise11PassThroughES8_S8_LNS6_6device18GemmSpecializationE4ELi64ELi32ELi32ELi256ELi8ELi8ELi16ELi16ELi2ELi2ENS_8SequenceIJLi32ELi2ELi1EEEENSB_IJLi1ELi0ELi2EEEESD_Li2ELi8ELi8ELb0ELi0ESC_SD_SD_Li2ELi8ELi8ELb0ELi0ELi1ELi1ENSB_IJLi1ELi16ELi1ELi4EEEELi4ELNS_26BlockGemmPipelineSchedulerE1ELNS_24BlockGemmPipelineVersionE1EDF16_DF16_Lb0ELb0ELb0ELi0ELb0EEELb1ELNS_25InMemoryDataOperationEnumE1ELi2ELNS_10TailNumberE2EEEvNT_8ArgumentE,@function
_ZN2ck27kernel_gemm_xdl_cshuffle_v3INS_28GridwiseGemm_xdl_cshuffle_v3INS_13tensor_layout4gemm8RowMajorENS3_11ColumnMajorES4_DF16_DF16_fDF16_DF16_NS_16tensor_operation12element_wise11PassThroughES8_S8_LNS6_6device18GemmSpecializationE4ELi64ELi32ELi32ELi256ELi8ELi8ELi16ELi16ELi2ELi2ENS_8SequenceIJLi32ELi2ELi1EEEENSB_IJLi1ELi0ELi2EEEESD_Li2ELi8ELi8ELb0ELi0ESC_SD_SD_Li2ELi8ELi8ELb0ELi0ELi1ELi1ENSB_IJLi1ELi16ELi1ELi4EEEELi4ELNS_26BlockGemmPipelineSchedulerE1ELNS_24BlockGemmPipelineVersionE1EDF16_DF16_Lb0ELb0ELb0ELi0ELb0EEELb1ELNS_25InMemoryDataOperationEnumE1ELi2ELNS_10TailNumberE2EEEvNT_8ArgumentE: ; @_ZN2ck27kernel_gemm_xdl_cshuffle_v3INS_28GridwiseGemm_xdl_cshuffle_v3INS_13tensor_layout4gemm8RowMajorENS3_11ColumnMajorES4_DF16_DF16_fDF16_DF16_NS_16tensor_operation12element_wise11PassThroughES8_S8_LNS6_6device18GemmSpecializationE4ELi64ELi32ELi32ELi256ELi8ELi8ELi16ELi16ELi2ELi2ENS_8SequenceIJLi32ELi2ELi1EEEENSB_IJLi1ELi0ELi2EEEESD_Li2ELi8ELi8ELb0ELi0ESC_SD_SD_Li2ELi8ELi8ELb0ELi0ELi1ELi1ENSB_IJLi1ELi16ELi1ELi4EEEELi4ELNS_26BlockGemmPipelineSchedulerE1ELNS_24BlockGemmPipelineVersionE1EDF16_DF16_Lb0ELb0ELb0ELi0ELb0EEELb1ELNS_25InMemoryDataOperationEnumE1ELi2ELNS_10TailNumberE2EEEvNT_8ArgumentE
; %bb.0:
	s_mov_b64 s[90:91], s[2:3]
	s_mov_b64 s[88:89], s[0:1]
	s_add_u32 s88, s88, s8
	s_load_dwordx8 s[64:71], s[4:5], 0x10
	s_load_dword s10, s[4:5], 0x68
	s_load_dwordx2 s[80:81], s[4:5], 0x60
	s_load_dwordx4 s[0:3], s[4:5], 0x50
	s_addc_u32 s89, s89, 0
	s_waitcnt lgkmcnt(0)
	s_cmp_gt_i32 s70, 1
	s_cselect_b64 s[8:9], -1, 0
	s_bitcmp1_b32 s10, 0
	s_cselect_b64 s[10:11], -1, 0
	s_and_b64 s[8:9], s[8:9], s[10:11]
	v_mov_b32_e32 v172, v0
	s_andn2_b64 vcc, exec, s[8:9]
	s_mov_b64 s[82:83], 0
	s_cbranch_vccnz .LBB1_2
; %bb.1:
	s_mul_i32 s8, s64, s7
	s_mul_i32 s82, s8, s65
	s_ashr_i32 s83, s82, 31
.LBB1_2:
	s_load_dword s9, s[4:5], 0x34
	s_load_dword s8, s[4:5], 0x3c
	s_add_i32 s4, s64, -1
	s_cmp_lt_u32 s4, 32
	s_mov_b32 s71, 0
	s_cbranch_scc1 .LBB1_6
; %bb.3:
	s_add_i32 s4, s65, -1
	s_cmp_lt_u32 s4, 32
	s_mov_b32 s4, 0
	s_cbranch_scc1 .LBB1_10
; %bb.4:
	s_add_i32 s4, s64, 31
	s_ashr_i32 s5, s4, 31
	s_lshr_b32 s5, s5, 27
	s_add_i32 s4, s4, s5
	s_ashr_i32 s11, s4, 5
	s_add_i32 s4, s65, 31
	s_ashr_i32 s5, s4, 31
	s_lshr_b32 s5, s5, 27
	s_add_i32 s4, s4, s5
	s_ashr_i32 s10, s4, 5
	s_mul_i32 s4, s10, s11
	s_add_i32 s5, s4, 7
	s_ashr_i32 s12, s5, 31
	s_lshr_b32 s12, s12, 29
	s_add_i32 s5, s5, s12
	s_ashr_i32 s12, s5, 3
	s_and_b32 s5, s5, -8
	s_sub_i32 s13, s4, s5
	s_ashr_i32 s4, s6, 31
	s_lshr_b32 s4, s4, 29
	s_add_i32 s15, s6, s4
	s_and_b32 s4, s15, -8
	s_add_i32 s13, s13, 8
	s_sub_i32 s14, s6, s4
	s_cmp_gt_i32 s14, s13
	s_cbranch_scc1 .LBB1_7
; %bb.5:
	s_mul_i32 s6, s12, s14
	s_ashr_i32 s4, s15, 3
	s_cbranch_execz .LBB1_8
	s_branch .LBB1_9
.LBB1_6:
	s_mov_b32 s33, 0
	s_branch .LBB1_11
.LBB1_7:
                                        ; implicit-def: $sgpr6
	s_ashr_i32 s4, s15, 3
.LBB1_8:
	s_add_i32 s5, s12, -1
	s_mul_i32 s5, s5, s14
	s_add_i32 s6, s13, s5
.LBB1_9:
	s_abs_i32 s5, s10
	v_cvt_f32_u32_e32 v0, s5
	s_sub_i32 s13, 0, s5
	s_add_i32 s4, s6, s4
	s_abs_i32 s12, s4
	v_rcp_iflag_f32_e32 v0, v0
	s_xor_b32 s6, s4, s10
	s_ashr_i32 s6, s6, 31
	v_mul_f32_e32 v0, 0x4f7ffffe, v0
	v_cvt_u32_f32_e32 v0, v0
	v_readfirstlane_b32 s14, v0
	s_mul_i32 s13, s13, s14
	s_mul_hi_u32 s13, s14, s13
	s_add_i32 s14, s14, s13
	s_mul_hi_u32 s13, s12, s14
	s_mul_i32 s14, s13, s5
	s_sub_i32 s12, s12, s14
	s_add_i32 s15, s13, 1
	s_sub_i32 s14, s12, s5
	s_cmp_ge_u32 s12, s5
	s_cselect_b32 s13, s15, s13
	s_cselect_b32 s12, s14, s12
	s_add_i32 s14, s13, 1
	s_cmp_ge_u32 s12, s5
	s_cselect_b32 s5, s14, s13
	s_xor_b32 s5, s5, s6
	s_lshr_b32 s12, s11, 30
	s_sub_i32 s5, s5, s6
	s_add_i32 s12, s11, s12
	s_mul_i32 s6, s5, s10
	s_sub_i32 s4, s4, s6
	s_and_b32 s6, s12, -4
	s_sub_i32 s11, s11, s6
	s_cmp_ge_i32 s5, s6
	s_cselect_b32 s6, s11, 4
	s_abs_i32 s12, s6
	v_cvt_f32_u32_e32 v0, s12
	s_ashr_i32 s11, s5, 31
	s_lshr_b32 s11, s11, 30
	s_add_i32 s11, s5, s11
	v_rcp_iflag_f32_e32 v0, v0
	s_and_b32 s11, s11, -4
	s_sub_i32 s11, s5, s11
	s_sub_i32 s14, 0, s12
	v_mul_f32_e32 v0, 0x4f7ffffe, v0
	v_cvt_u32_f32_e32 v0, v0
	s_mul_i32 s10, s11, s10
	s_add_i32 s10, s10, s4
	s_abs_i32 s13, s10
	v_readfirstlane_b32 s15, v0
	s_mul_i32 s14, s14, s15
	s_mul_hi_u32 s14, s15, s14
	s_add_i32 s15, s15, s14
	s_mul_hi_u32 s14, s13, s15
	s_mul_i32 s15, s14, s12
	s_xor_b32 s4, s10, s6
	s_sub_i32 s13, s13, s15
	s_ashr_i32 s4, s4, 31
	s_add_i32 s15, s14, 1
	s_sub_i32 s16, s13, s12
	s_cmp_ge_u32 s13, s12
	s_cselect_b32 s14, s15, s14
	s_cselect_b32 s13, s16, s13
	s_add_i32 s15, s14, 1
	s_cmp_ge_u32 s13, s12
	s_cselect_b32 s12, s15, s14
	s_xor_b32 s12, s12, s4
	s_sub_i32 s4, s12, s4
	s_mul_i32 s6, s4, s6
	s_sub_i32 s6, s10, s6
	s_add_i32 s6, s6, s5
	s_sub_i32 s6, s6, s11
.LBB1_10:
	s_mov_b32 s33, s6
	s_mov_b32 s6, s4
.LBB1_11:
	s_waitcnt lgkmcnt(0)
	s_mul_i32 s4, s9, s7
	s_ashr_i32 s5, s4, 31
	s_lshl_b64 s[4:5], s[4:5], 1
	s_add_u32 s72, s0, s4
	s_addc_u32 s73, s1, s5
	s_add_u32 s76, s2, s4
	s_addc_u32 s77, s3, s5
	s_add_u32 s84, 0, 0
	s_addc_u32 s85, s64, -1
	s_add_u32 s1, 0, 0
	s_addc_u32 s1, s65, 0x7fffffff
	s_add_i32 s2, s70, -1
	s_mul_i32 s3, s2, s9
	s_sub_i32 s3, s66, s3
	s_cmp_lt_u32 s7, s2
	v_lshrrev_b32_e32 v166, 1, v172
	s_cselect_b32 s2, s9, s3
	s_lshl_b32 s3, s33, 5
	v_and_b32_e32 v136, 16, v166
	v_and_b32_e32 v1, 31, v172
	v_add_u32_e32 v167, s3, v136
	s_mul_i32 s0, s85, s67
	v_lshlrev_b32_e32 v2, 3, v1
	v_mul_lo_u32 v110, v167, s67
	v_lshlrev_b32_e32 v4, 2, v172
	v_add_u32_e32 v3, v110, v2
	buffer_store_dword v4, off, s[88:91], 0 offset:696 ; 4-byte Folded Spill
	v_and_b32_e32 v4, 0xc0, v4
	s_add_i32 s0, s2, s0
	buffer_store_dword v4, off, s[88:91], 0 offset:700 ; 4-byte Folded Spill
	v_lshrrev_b32_e32 v144, 3, v4
	s_lshl_b32 s74, s0, 1
	s_mov_b32 s75, 0x20000
	v_lshlrev_b32_e32 v4, 1, v3
	v_add_u32_e32 v3, s67, v3
	v_lshlrev_b32_e32 v5, 1, v3
	buffer_load_dwordx4 v[66:69], v4, s[72:75], 0 offen
	buffer_load_dwordx4 v[70:73], v5, s[72:75], 0 offen
	v_add_u32_e32 v3, s67, v3
	v_lshlrev_b32_e32 v4, 1, v3
	v_add_u32_e32 v3, s67, v3
	v_lshlrev_b32_e32 v5, 1, v3
	buffer_load_dwordx4 v[74:77], v4, s[72:75], 0 offen
	buffer_load_dwordx4 v[78:81], v5, s[72:75], 0 offen
	v_add_u32_e32 v3, s67, v3
	;; [unrolled: 6-line block ×6, first 2 shown]
	v_lshlrev_b32_e32 v4, 1, v3
	v_add_u32_e32 v3, s67, v3
	s_lshl_b32 s66, s6, 5
	v_lshlrev_b32_e32 v5, 1, v3
	buffer_load_dwordx4 v[118:121], v4, s[72:75], 0 offen
	buffer_load_dwordx4 v[122:125], v5, s[72:75], 0 offen
	v_xor_b32_e32 v137, v136, v1
	v_lshlrev_b32_e32 v0, 8, v136
	v_add_u32_e32 v169, s66, v136
	v_add_u32_e32 v3, s67, v3
	v_lshl_or_b32 v168, v137, 3, v0
	v_mul_lo_u32 v0, v169, s68
	v_add_u32_e32 v170, s67, v3
	s_mul_i32 s1, s1, s68
	v_add_u32_e32 v2, v0, v2
	v_lshlrev_b32_e32 v4, 1, v3
	v_lshlrev_b32_e32 v3, 1, v170
	buffer_load_dwordx4 v[126:129], v4, s[72:75], 0 offen
	buffer_load_dwordx4 v[130:133], v3, s[72:75], 0 offen
	s_add_i32 s2, s2, s1
	v_lshlrev_b32_e32 v3, 1, v2
	v_add_u32_e32 v2, s68, v2
	s_lshl_b32 s78, s2, 1
	s_mov_b32 s79, s75
	v_lshlrev_b32_e32 v4, 1, v2
	v_add_u32_e32 v2, s68, v2
	buffer_load_dwordx4 v[62:65], v3, s[76:79], 0 offen
	buffer_load_dwordx4 v[54:57], v4, s[76:79], 0 offen
	v_lshlrev_b32_e32 v3, 1, v2
	v_add_u32_e32 v2, s68, v2
	v_lshlrev_b32_e32 v4, 1, v2
	v_add_u32_e32 v2, s68, v2
	buffer_load_dwordx4 v[58:61], v3, s[76:79], 0 offen
	buffer_load_dwordx4 v[46:49], v4, s[76:79], 0 offen
	v_lshlrev_b32_e32 v3, 1, v2
	v_add_u32_e32 v2, s68, v2
	;; [unrolled: 6-line block ×6, first 2 shown]
	v_lshlrev_b32_e32 v4, 1, v2
	v_add_u32_e32 v2, s68, v2
	v_add_u32_e32 v171, s68, v2
	v_cmp_gt_i32_e32 vcc, s64, v167
	v_add_u32_e32 v111, 1, v167
	v_add_u32_e32 v112, 2, v167
	;; [unrolled: 1-line block ×15, first 2 shown]
	buffer_load_dwordx4 v[18:21], v3, s[76:79], 0 offen
	buffer_load_dwordx4 v[6:9], v4, s[76:79], 0 offen
	v_lshlrev_b32_e32 v3, 1, v2
	v_lshlrev_b32_e32 v2, 1, v171
	s_mul_i32 s0, s67, -15
	s_waitcnt vmcnt(29)
	v_cndmask_b32_e32 v69, 0, v69, vcc
	v_cndmask_b32_e32 v68, 0, v68, vcc
	;; [unrolled: 1-line block ×4, first 2 shown]
	v_lshlrev_b32_e32 v167, 1, v168
	buffer_load_dwordx4 v[10:13], v3, s[76:79], 0 offen
	s_nop 0
	buffer_load_dwordx4 v[2:5], v2, s[76:79], 0 offen
	s_addk_i32 s0, 0x100
	ds_write_b128 v167, v[66:69]
	v_or_b32_e32 v66, 1, v136
	v_add_u32_e32 v170, s0, v170
	s_mul_i32 s0, s68, -15
	v_xor_b32_e32 v66, v66, v1
	s_addk_i32 s0, 0x100
	v_sub_u32_e32 v67, v66, v137
	v_or_b32_e32 v69, 2, v136
	v_add_u32_e32 v171, s0, v171
	v_cmp_gt_i32_e64 s[0:1], s64, v111
	v_lshlrev_b32_e32 v173, 3, v67
	v_lshlrev_b32_e32 v67, 4, v67
	v_xor_b32_e32 v69, v69, v1
	s_waitcnt vmcnt(30)
	v_cndmask_b32_e64 v73, 0, v73, s[0:1]
	v_cndmask_b32_e64 v72, 0, v72, s[0:1]
	;; [unrolled: 1-line block ×4, first 2 shown]
	v_add_u32_e32 v68, v167, v67
	v_sub_u32_e32 v66, v69, v66
	ds_write_b128 v68, v[70:73] offset:512
	v_lshlrev_b32_e32 v70, 3, v66
	buffer_store_dword v70, off, s[88:91], 0 offset:632 ; 4-byte Folded Spill
	v_add_u32_e32 v70, 0x100, v70
	v_add_u32_e32 v71, 0x100, v173
	buffer_store_dword v173, off, s[88:91], 0 offset:628 ; 4-byte Folded Spill
	buffer_store_dword v70, off, s[88:91], 0 offset:168 ; 4-byte Folded Spill
	;; [unrolled: 1-line block ×3, first 2 shown]
	v_add3_u32 v70, v71, v168, v70
	v_or_b32_e32 v71, 3, v136
	v_xor_b32_e32 v71, v71, v1
	v_sub_u32_e32 v69, v71, v69
	s_ashr_i32 s3, s8, 31
	v_lshlrev_b32_e32 v72, 3, v69
	s_lshr_b32 s3, s3, 27
	buffer_store_dword v72, off, s[88:91], 0 offset:636 ; 4-byte Folded Spill
	v_add_u32_e32 v73, 0x100, v72
	v_or_b32_e32 v72, 4, v136
	s_add_i32 s8, s8, s3
	v_cmp_gt_i32_e64 s[2:3], s64, v112
	v_lshlrev_b32_e32 v66, 4, v66
	s_movk_i32 s70, 0x200
	v_xor_b32_e32 v72, v72, v1
	s_waitcnt vmcnt(34)
	v_cndmask_b32_e64 v77, 0, v77, s[2:3]
	v_cndmask_b32_e64 v76, 0, v76, s[2:3]
	;; [unrolled: 1-line block ×4, first 2 shown]
	v_add3_u32 v68, v68, s70, v66
	v_sub_u32_e32 v71, v72, v71
	v_cmp_gt_i32_e64 s[4:5], s64, v113
	ds_write_b128 v68, v[74:77] offset:512
	v_lshlrev_b32_e32 v69, 4, v69
	v_lshlrev_b32_e32 v74, 3, v71
	s_waitcnt vmcnt(33)
	v_cndmask_b32_e64 v81, 0, v81, s[4:5]
	v_cndmask_b32_e64 v80, 0, v80, s[4:5]
	;; [unrolled: 1-line block ×4, first 2 shown]
	v_add3_u32 v68, v68, s70, v69
	buffer_store_dword v74, off, s[88:91], 0 offset:640 ; 4-byte Folded Spill
	v_add_u32_e32 v74, 0x100, v74
	ds_write_b128 v68, v[78:81] offset:512
	buffer_store_dword v73, off, s[88:91], 0 offset:176 ; 4-byte Folded Spill
	buffer_store_dword v74, off, s[88:91], 0 offset:180 ; 4-byte Folded Spill
	v_add3_u32 v70, v70, v73, v74
	v_or_b32_e32 v73, 5, v136
	v_xor_b32_e32 v73, v73, v1
	v_sub_u32_e32 v72, v73, v72
	v_lshlrev_b32_e32 v74, 3, v72
	buffer_store_dword v74, off, s[88:91], 0 offset:644 ; 4-byte Folded Spill
	v_add_u32_e32 v75, 0x100, v74
	v_or_b32_e32 v74, 6, v136
	v_xor_b32_e32 v74, v74, v1
	v_cmp_gt_i32_e64 s[6:7], s64, v134
	v_lshlrev_b32_e32 v71, 4, v71
	v_sub_u32_e32 v73, v74, v73
	s_ashr_i32 s87, s8, 5
	s_waitcnt vmcnt(36)
	v_cndmask_b32_e64 v85, 0, v85, s[6:7]
	v_cndmask_b32_e64 v84, 0, v84, s[6:7]
	v_cndmask_b32_e64 v83, 0, v83, s[6:7]
	v_cndmask_b32_e64 v82, 0, v82, s[6:7]
	v_cmp_gt_i32_e64 s[8:9], s64, v135
	v_add3_u32 v68, v68, s70, v71
	v_lshlrev_b32_e32 v72, 4, v72
	v_lshlrev_b32_e32 v76, 3, v73
	s_waitcnt vmcnt(35)
	v_cndmask_b32_e64 v89, 0, v89, s[8:9]
	v_cndmask_b32_e64 v88, 0, v88, s[8:9]
	v_cndmask_b32_e64 v87, 0, v87, s[8:9]
	v_cndmask_b32_e64 v86, 0, v86, s[8:9]
	ds_write_b128 v68, v[82:85] offset:512
	v_add3_u32 v68, v68, s70, v72
	buffer_store_dword v76, off, s[88:91], 0 offset:648 ; 4-byte Folded Spill
	v_add_u32_e32 v76, 0x100, v76
	ds_write_b128 v68, v[86:89] offset:512
	buffer_store_dword v75, off, s[88:91], 0 offset:184 ; 4-byte Folded Spill
	buffer_store_dword v76, off, s[88:91], 0 offset:188 ; 4-byte Folded Spill
	v_add3_u32 v70, v70, v75, v76
	v_or_b32_e32 v75, 7, v136
	v_xor_b32_e32 v75, v75, v1
	v_sub_u32_e32 v74, v75, v74
	v_lshlrev_b32_e32 v76, 3, v74
	buffer_store_dword v76, off, s[88:91], 0 offset:652 ; 4-byte Folded Spill
	v_add_u32_e32 v77, 0x100, v76
	v_or_b32_e32 v76, 8, v136
	v_xor_b32_e32 v76, v76, v1
	v_cmp_gt_i32_e64 s[10:11], s64, v138
	v_lshlrev_b32_e32 v73, 4, v73
	v_sub_u32_e32 v75, v76, v75
	s_waitcnt vmcnt(38)
	v_cndmask_b32_e64 v93, 0, v93, s[10:11]
	v_cndmask_b32_e64 v92, 0, v92, s[10:11]
	v_cndmask_b32_e64 v91, 0, v91, s[10:11]
	v_cndmask_b32_e64 v90, 0, v90, s[10:11]
	v_cmp_gt_i32_e64 s[12:13], s64, v139
	v_add3_u32 v68, v68, s70, v73
	v_lshlrev_b32_e32 v74, 4, v74
	v_lshlrev_b32_e32 v78, 3, v75
	s_waitcnt vmcnt(37)
	v_cndmask_b32_e64 v97, 0, v97, s[12:13]
	v_cndmask_b32_e64 v96, 0, v96, s[12:13]
	v_cndmask_b32_e64 v95, 0, v95, s[12:13]
	v_cndmask_b32_e64 v94, 0, v94, s[12:13]
	ds_write_b128 v68, v[90:93] offset:512
	v_add3_u32 v68, v68, s70, v74
	buffer_store_dword v78, off, s[88:91], 0 offset:656 ; 4-byte Folded Spill
	v_add_u32_e32 v78, 0x100, v78
	ds_write_b128 v68, v[94:97] offset:512
	buffer_store_dword v77, off, s[88:91], 0 offset:192 ; 4-byte Folded Spill
	buffer_store_dword v78, off, s[88:91], 0 offset:196 ; 4-byte Folded Spill
	v_add3_u32 v70, v70, v77, v78
	v_or_b32_e32 v77, 9, v136
	v_xor_b32_e32 v77, v77, v1
	v_sub_u32_e32 v76, v77, v76
	v_lshlrev_b32_e32 v78, 3, v76
	buffer_store_dword v78, off, s[88:91], 0 offset:660 ; 4-byte Folded Spill
	v_add_u32_e32 v79, 0x100, v78
	v_or_b32_e32 v78, 10, v136
	v_xor_b32_e32 v78, v78, v1
	v_cmp_gt_i32_e64 s[14:15], s64, v141
	v_lshlrev_b32_e32 v75, 4, v75
	v_sub_u32_e32 v77, v78, v77
	;; [unrolled: 33-line block ×4, first 2 shown]
	s_waitcnt vmcnt(44)
	v_cndmask_b32_e64 v121, 0, v121, s[22:23]
	v_cndmask_b32_e64 v120, 0, v120, s[22:23]
	;; [unrolled: 1-line block ×4, first 2 shown]
	v_cmp_gt_i32_e64 s[24:25], s64, v148
	v_add3_u32 v68, v68, s70, v79
	v_lshlrev_b32_e32 v80, 4, v80
	v_lshlrev_b32_e32 v82, 3, v81
	s_waitcnt vmcnt(43)
	v_cndmask_b32_e64 v125, 0, v125, s[24:25]
	v_cndmask_b32_e64 v124, 0, v124, s[24:25]
	v_cndmask_b32_e64 v123, 0, v123, s[24:25]
	v_cndmask_b32_e64 v122, 0, v122, s[24:25]
	ds_write_b128 v68, v[118:121] offset:512
	v_add3_u32 v68, v68, s70, v80
	buffer_store_dword v82, off, s[88:91], 0 offset:684 ; 4-byte Folded Spill
	v_add_u32_e32 v82, 0x100, v82
	ds_write_b128 v68, v[122:125] offset:512
	buffer_store_dword v83, off, s[88:91], 0 offset:680 ; 4-byte Folded Spill
	buffer_store_dword v82, off, s[88:91], 0 offset:216 ; 4-byte Folded Spill
	v_add3_u32 v70, v70, v83, v82
	v_or_b32_e32 v82, 15, v166
	v_xor_b32_e32 v82, v82, v172
	v_and_b32_e32 v82, 31, v82
	v_cmp_gt_i32_e64 s[26:27], s64, v149
	v_lshlrev_b32_e32 v81, 4, v81
	v_sub_u32_e32 v83, v82, v168
	s_waitcnt vmcnt(45)
	v_cndmask_b32_e64 v129, 0, v129, s[26:27]
	v_cndmask_b32_e64 v128, 0, v128, s[26:27]
	;; [unrolled: 1-line block ×4, first 2 shown]
	v_cmp_gt_i32_e64 s[28:29], s64, v150
	v_add3_u32 v68, v68, s70, v81
	v_lshl_add_u32 v70, v83, 3, v70
	v_lshlrev_b32_e32 v83, 4, v83
	s_waitcnt vmcnt(44)
	v_cndmask_b32_e64 v133, 0, v133, s[28:29]
	v_cndmask_b32_e64 v132, 0, v132, s[28:29]
	;; [unrolled: 1-line block ×4, first 2 shown]
	ds_write_b128 v68, v[126:129] offset:512
	v_add3_u32 v68, v68, s70, v83
	ds_write_b128 v68, v[130:133] offset:512
	v_sub_u32_e32 v68, v137, v82
	v_lshlrev_b32_e32 v68, 3, v68
	s_movk_i32 s30, 0xf200
	v_add_u32_e32 v151, 1, v169
	v_add3_u32 v166, v70, v68, s30
	v_cmp_gt_i32_e64 s[30:31], s65, v169
	v_add_u32_e32 v152, 2, v169
	s_waitcnt vmcnt(43)
	v_cndmask_b32_e64 v65, 0, v65, s[30:31]
	v_cndmask_b32_e64 v64, 0, v64, s[30:31]
	;; [unrolled: 1-line block ×4, first 2 shown]
	v_cmp_gt_i32_e64 s[34:35], s65, v151
	v_or_b32_e32 v68, 0x4000, v167
	v_add_u32_e32 v153, 3, v169
	s_waitcnt vmcnt(42)
	v_cndmask_b32_e64 v57, 0, v57, s[34:35]
	v_cndmask_b32_e64 v56, 0, v56, s[34:35]
	;; [unrolled: 1-line block ×4, first 2 shown]
	v_cmp_gt_i32_e64 s[36:37], s65, v152
	ds_write_b128 v167, v[62:65] offset:16384
	v_add_u32_e32 v62, v68, v67
	v_add_u32_e32 v182, 4, v169
	s_waitcnt vmcnt(41)
	v_cndmask_b32_e64 v61, 0, v61, s[36:37]
	v_cndmask_b32_e64 v60, 0, v60, s[36:37]
	v_cndmask_b32_e64 v59, 0, v59, s[36:37]
	v_cndmask_b32_e64 v58, 0, v58, s[36:37]
	v_cmp_gt_i32_e64 s[38:39], s65, v153
	ds_write_b128 v62, v[54:57] offset:512
	v_add3_u32 v54, v62, s70, v66
	v_add_u32_e32 v183, 5, v169
	s_waitcnt vmcnt(40)
	v_cndmask_b32_e64 v49, 0, v49, s[38:39]
	v_cndmask_b32_e64 v48, 0, v48, s[38:39]
	v_cndmask_b32_e64 v47, 0, v47, s[38:39]
	v_cndmask_b32_e64 v46, 0, v46, s[38:39]
	v_cmp_gt_i32_e64 s[40:41], s65, v182
	ds_write_b128 v54, v[58:61] offset:512
	v_add3_u32 v54, v54, s70, v69
	;; [unrolled: 9-line block ×12, first 2 shown]
	s_waitcnt vmcnt(29)
	v_cndmask_b32_e64 v13, 0, v13, s[60:61]
	v_cndmask_b32_e64 v12, 0, v12, s[60:61]
	;; [unrolled: 1-line block ×4, first 2 shown]
	v_cmp_gt_i32_e64 s[62:63], s65, v165
	ds_write_b128 v14, v[6:9] offset:512
	v_add3_u32 v6, v14, s70, v81
	s_waitcnt vmcnt(28)
	v_cndmask_b32_e64 v5, 0, v5, s[62:63]
	v_cndmask_b32_e64 v4, 0, v4, s[62:63]
	;; [unrolled: 1-line block ×4, first 2 shown]
	ds_write_b128 v6, v[10:13] offset:512
	v_add3_u32 v6, v6, s70, v83
	buffer_store_dword v172, off, s[88:91], 0 offset:692 ; 4-byte Folded Spill
	ds_write_b128 v6, v[2:5] offset:512
	v_lshlrev_b32_e32 v2, 1, v170
	v_add_u32_e32 v3, s67, v170
	v_lshlrev_b32_e32 v4, 1, v3
	buffer_load_dwordx4 v[74:77], v2, s[72:75], 0 offen
	buffer_load_dwordx4 v[70:73], v4, s[72:75], 0 offen
	v_add_u32_e32 v2, s67, v3
	v_lshlrev_b32_e32 v3, 1, v2
	v_add_u32_e32 v2, s67, v2
	v_lshlrev_b32_e32 v4, 1, v2
	v_add_u32_e32 v2, s67, v2
	buffer_load_dwordx4 v[66:69], v3, s[72:75], 0 offen
	buffer_load_dwordx4 v[118:121], v4, s[72:75], 0 offen
	v_lshlrev_b32_e32 v3, 1, v2
	v_add_u32_e32 v2, s67, v2
	v_lshlrev_b32_e32 v4, 1, v2
	v_add_u32_e32 v2, s67, v2
	buffer_load_dwordx4 v[114:117], v3, s[72:75], 0 offen
	buffer_load_dwordx4 v[106:109], v4, s[72:75], 0 offen
	;; [unrolled: 6-line block ×6, first 2 shown]
	v_lshlrev_b32_e32 v3, 1, v2
	v_add_lshl_u32 v2, v2, s67, 1
	buffer_load_dwordx4 v[42:45], v3, s[72:75], 0 offen
	buffer_load_dwordx4 v[38:41], v2, s[72:75], 0 offen
	v_lshlrev_b32_e32 v2, 1, v171
	v_add_u32_e32 v3, s68, v171
	v_lshlrev_b32_e32 v4, 1, v3
	buffer_load_dwordx4 v[48:51], v2, s[76:79], 0 offen
	buffer_load_dwordx4 v[178:181], v4, s[76:79], 0 offen
	v_add_u32_e32 v2, s68, v3
	v_lshlrev_b32_e32 v3, 1, v2
	buffer_load_dwordx4 v[6:9], v3, s[76:79], 0 offen
	v_add_u32_e32 v2, s68, v2
	v_lshlrev_b32_e32 v4, 1, v2
	s_waitcnt vmcnt(0)
	buffer_store_dword v6, off, s[88:91], 0 offset:248 ; 4-byte Folded Spill
	s_nop 0
	buffer_store_dword v7, off, s[88:91], 0 offset:252 ; 4-byte Folded Spill
	buffer_store_dword v8, off, s[88:91], 0 offset:256 ; 4-byte Folded Spill
	;; [unrolled: 1-line block ×3, first 2 shown]
	buffer_load_dwordx4 v[4:7], v4, s[76:79], 0 offen
	v_add_u32_e32 v2, s68, v2
	s_waitcnt vmcnt(0)
	buffer_store_dword v4, off, s[88:91], 0 offset:264 ; 4-byte Folded Spill
	s_nop 0
	buffer_store_dword v5, off, s[88:91], 0 offset:268 ; 4-byte Folded Spill
	buffer_store_dword v6, off, s[88:91], 0 offset:272 ; 4-byte Folded Spill
	;; [unrolled: 1-line block ×3, first 2 shown]
	v_lshlrev_b32_e32 v3, 1, v2
	v_add_u32_e32 v2, s68, v2
	v_lshlrev_b32_e32 v4, 1, v2
	v_add_u32_e32 v2, s68, v2
	buffer_load_dwordx4 v[30:33], v3, s[76:79], 0 offen
	buffer_load_dwordx4 v[34:37], v4, s[76:79], 0 offen
	v_lshlrev_b32_e32 v3, 1, v2
	v_add_u32_e32 v2, s68, v2
	v_lshlrev_b32_e32 v4, 1, v2
	v_add_u32_e32 v2, s68, v2
	buffer_load_dwordx4 v[174:177], v3, s[76:79], 0 offen
	buffer_load_dwordx4 v[130:133], v4, s[76:79], 0 offen
	;; [unrolled: 6-line block ×5, first 2 shown]
	v_lshlrev_b32_e32 v3, 1, v2
	v_add_lshl_u32 v2, v2, s68, 1
	buffer_load_dwordx4 v[62:65], v3, s[76:79], 0 offen
	buffer_load_dwordx4 v[26:29], v2, s[76:79], 0 offen
	v_and_b32_e32 v143, 15, v172
	v_or_b32_e32 v3, 1, v144
	v_lshlrev_b32_e32 v2, 9, v143
	v_xor_b32_e32 v4, v3, v143
	v_lshl_or_b32 v4, v4, 4, v2
	buffer_store_dword v4, off, s[88:91], 0 offset:108 ; 4-byte Folded Spill
	v_or_b32_e32 v4, 2, v144
	v_xor_b32_e32 v5, v4, v143
	v_lshl_or_b32 v5, v5, 4, v2
	buffer_store_dword v5, off, s[88:91], 0 offset:112 ; 4-byte Folded Spill
	v_or_b32_e32 v5, 3, v144
	;; [unrolled: 4-line block ×4, first 2 shown]
	v_xor_b32_e32 v8, v7, v143
	v_lshl_or_b32 v8, v8, 4, v2
	v_lshlrev_b32_e32 v0, 1, v0
	buffer_store_dword v8, off, s[88:91], 0 offset:124 ; 4-byte Folded Spill
	v_or_b32_e32 v8, 6, v144
	buffer_store_dword v0, off, s[88:91], 0 offset:40 ; 4-byte Folded Spill
	v_mul_lo_u32 v0, s67, v150
	v_xor_b32_e32 v9, v8, v143
	v_lshlrev_b32_e32 v0, 1, v0
	v_lshl_or_b32 v9, v9, 4, v2
	buffer_store_dword v0, off, s[88:91], 0 offset:44 ; 4-byte Folded Spill
	v_mul_lo_u32 v0, s67, v149
	buffer_store_dword v9, off, s[88:91], 0 offset:128 ; 4-byte Folded Spill
	v_or_b32_e32 v9, 7, v144
	v_lshlrev_b32_e32 v0, 1, v0
	v_xor_b32_e32 v140, v144, v143
	v_xor_b32_e32 v10, v9, v143
	buffer_store_dword v0, off, s[88:91], 0 offset:48 ; 4-byte Folded Spill
	v_mul_lo_u32 v0, s67, v148
	v_lshl_or_b32 v12, v140, 4, v2
	v_lshl_or_b32 v2, v10, 4, v2
	v_lshlrev_b32_e32 v0, 1, v0
	buffer_store_dword v2, off, s[88:91], 0 offset:132 ; 4-byte Folded Spill
	v_or_b32_e32 v2, 16, v143
	buffer_store_dword v0, off, s[88:91], 0 offset:52 ; 4-byte Folded Spill
	v_mul_lo_u32 v0, s67, v147
	v_xor_b32_sdwa v10, v144, v2 dst_sel:DWORD dst_unused:UNUSED_PAD src0_sel:DWORD src1_sel:WORD_0
	v_xor_b32_sdwa v3, v3, v2 dst_sel:DWORD dst_unused:UNUSED_PAD src0_sel:DWORD src1_sel:WORD_0
	;; [unrolled: 1-line block ×8, first 2 shown]
	v_or_b32_e32 v9, 15, v136
	v_lshlrev_b32_e32 v0, 1, v0
	v_xor_b32_e32 v9, v9, v1
	v_lshlrev_b32_e32 v226, 4, v1
	v_mul_lo_u32 v1, s68, v165
	buffer_store_dword v0, off, s[88:91], 0 offset:56 ; 4-byte Folded Spill
	v_mul_lo_u32 v0, s67, v146
	v_lshlrev_b32_e32 v1, 1, v1
	v_lshlrev_b32_e32 v0, 1, v0
	buffer_store_dword v1, off, s[88:91], 0 offset:228 ; 4-byte Folded Spill
	v_mul_lo_u32 v1, s68, v164
	buffer_store_dword v0, off, s[88:91], 0 offset:60 ; 4-byte Folded Spill
	v_mul_lo_u32 v0, s67, v145
	v_lshlrev_b32_e32 v1, 1, v1
	v_lshlrev_b32_e32 v0, 1, v0
	buffer_store_dword v1, off, s[88:91], 0 offset:232 ; 4-byte Folded Spill
	v_mul_lo_u32 v1, s68, v163
	buffer_store_dword v0, off, s[88:91], 0 offset:64 ; 4-byte Folded Spill
	v_mul_lo_u32 v0, s67, v142
	v_lshlrev_b32_e32 v1, 1, v1
	v_lshlrev_b32_e32 v0, 1, v0
	buffer_store_dword v1, off, s[88:91], 0 ; 4-byte Folded Spill
	v_mul_lo_u32 v1, s68, v162
	buffer_store_dword v0, off, s[88:91], 0 offset:68 ; 4-byte Folded Spill
	v_mul_lo_u32 v0, s67, v141
	v_lshlrev_b32_e32 v1, 1, v1
	v_lshlrev_b32_e32 v0, 1, v0
	buffer_store_dword v1, off, s[88:91], 0 offset:236 ; 4-byte Folded Spill
	v_mul_lo_u32 v1, s68, v189
	buffer_store_dword v0, off, s[88:91], 0 offset:72 ; 4-byte Folded Spill
	v_mul_lo_u32 v0, s67, v139
	v_lshlrev_b32_e32 v1, 1, v1
	v_lshlrev_b32_e32 v0, 1, v0
	buffer_store_dword v1, off, s[88:91], 0 offset:4 ; 4-byte Folded Spill
	v_mul_lo_u32 v1, s68, v188
	buffer_store_dword v0, off, s[88:91], 0 offset:76 ; 4-byte Folded Spill
	v_mul_lo_u32 v0, s67, v138
	v_lshlrev_b32_e32 v1, 1, v1
	v_lshlrev_b32_e32 v0, 1, v0
	buffer_store_dword v1, off, s[88:91], 0 offset:240 ; 4-byte Folded Spill
	v_mul_lo_u32 v1, s68, v187
	buffer_store_dword v0, off, s[88:91], 0 offset:80 ; 4-byte Folded Spill
	v_mul_lo_u32 v0, s67, v135
	v_lshlrev_b32_e32 v1, 1, v1
	v_lshlrev_b32_e32 v0, 1, v0
	buffer_store_dword v1, off, s[88:91], 0 offset:8 ; 4-byte Folded Spill
	v_mul_lo_u32 v1, s68, v186
	buffer_store_dword v0, off, s[88:91], 0 offset:84 ; 4-byte Folded Spill
	v_mul_lo_u32 v0, s67, v134
	v_lshlrev_b32_e32 v1, 1, v1
	v_lshlrev_b32_e32 v0, 1, v0
	buffer_store_dword v1, off, s[88:91], 0 offset:244 ; 4-byte Folded Spill
	v_mul_lo_u32 v1, s68, v185
	buffer_store_dword v0, off, s[88:91], 0 offset:88 ; 4-byte Folded Spill
	v_mul_lo_u32 v0, s67, v113
	v_lshlrev_b32_e32 v1, 1, v1
	v_lshlrev_b32_e32 v0, 1, v0
	buffer_store_dword v1, off, s[88:91], 0 offset:12 ; 4-byte Folded Spill
	v_mul_lo_u32 v1, s68, v184
	buffer_store_dword v0, off, s[88:91], 0 offset:92 ; 4-byte Folded Spill
	v_mul_lo_u32 v0, s67, v112
	v_lshlrev_b32_e32 v1, 1, v1
	v_lshlrev_b32_e32 v0, 1, v0
	buffer_store_dword v1, off, s[88:91], 0 offset:16 ; 4-byte Folded Spill
	v_mul_lo_u32 v1, s68, v183
	buffer_store_dword v0, off, s[88:91], 0 offset:96 ; 4-byte Folded Spill
	v_mul_lo_u32 v0, s67, v111
	v_sub_u32_e32 v10, v10, v140
	v_lshlrev_b32_e32 v1, 1, v1
	v_lshlrev_b32_e32 v0, 1, v0
	;; [unrolled: 1-line block ×3, first 2 shown]
	v_sub_u32_e32 v3, v3, v140
	buffer_store_dword v1, off, s[88:91], 0 offset:20 ; 4-byte Folded Spill
	v_mul_lo_u32 v1, s68, v182
	buffer_store_dword v0, off, s[88:91], 0 offset:100 ; 4-byte Folded Spill
	v_lshlrev_b32_e32 v0, 1, v110
	v_lshlrev_b32_e32 v3, 4, v3
	v_sub_u32_e32 v4, v4, v140
	v_lshlrev_b32_e32 v1, 1, v1
	buffer_store_dword v0, off, s[88:91], 0 offset:104 ; 4-byte Folded Spill
	v_add_u32_e32 v0, v12, v10
	v_lshlrev_b32_e32 v4, 4, v4
	v_sub_u32_e32 v5, v5, v140
	buffer_store_dword v1, off, s[88:91], 0 offset:24 ; 4-byte Folded Spill
	v_mul_lo_u32 v1, s68, v153
	buffer_store_dword v0, off, s[88:91], 0 offset:164 ; 4-byte Folded Spill
	v_add_u32_e32 v0, v12, v3
	v_lshlrev_b32_e32 v5, 4, v5
	v_sub_u32_e32 v6, v6, v140
	v_sub_u32_e32 v11, v9, v168
	v_lshlrev_b32_e32 v1, 1, v1
	buffer_store_dword v0, off, s[88:91], 0 offset:160 ; 4-byte Folded Spill
	v_add_u32_e32 v0, v12, v4
	v_lshlrev_b32_e32 v6, 4, v6
	v_sub_u32_e32 v7, v7, v140
	v_lshlrev_b32_e32 v11, 3, v11
	buffer_store_dword v1, off, s[88:91], 0 offset:28 ; 4-byte Folded Spill
	v_mul_lo_u32 v1, s68, v152
	buffer_store_dword v0, off, s[88:91], 0 offset:156 ; 4-byte Folded Spill
	v_add_u32_e32 v0, v12, v5
	v_lshlrev_b32_e32 v7, 4, v7
	v_sub_u32_e32 v8, v8, v140
	buffer_store_dword v11, off, s[88:91], 0 offset:688 ; 4-byte Folded Spill
	v_add_u32_e32 v11, 0x100, v11
	v_lshlrev_b32_e32 v1, 1, v1
	buffer_store_dword v0, off, s[88:91], 0 offset:152 ; 4-byte Folded Spill
	v_add_u32_e32 v0, v12, v6
	v_lshlrev_b32_e32 v8, 4, v8
	v_sub_u32_e32 v2, v2, v140
	buffer_store_dword v11, off, s[88:91], 0 offset:220 ; 4-byte Folded Spill
	v_sub_u32_e32 v9, v137, v9
	v_mov_b32_e32 v11, 0xfffff100
	buffer_store_dword v1, off, s[88:91], 0 offset:32 ; 4-byte Folded Spill
	v_mul_lo_u32 v1, s68, v151
	buffer_store_dword v0, off, s[88:91], 0 offset:148 ; 4-byte Folded Spill
	v_add_u32_e32 v0, v12, v7
	v_lshlrev_b32_e32 v2, 4, v2
	v_lshl_add_u32 v9, v9, 3, v11
	v_lshlrev_b32_e32 v1, 1, v1
	v_mov_b32_e32 v146, 0
	buffer_store_dword v0, off, s[88:91], 0 offset:144 ; 4-byte Folded Spill
	v_add_u32_e32 v0, v12, v8
	s_movk_i32 s86, 0x4000
	s_add_i32 s87, s87, -2
	buffer_store_dword v9, off, s[88:91], 0 offset:224 ; 4-byte Folded Spill
	buffer_store_dword v1, off, s[88:91], 0 offset:36 ; 4-byte Folded Spill
	;; [unrolled: 1-line block ×4, first 2 shown]
	v_add_u32_e32 v0, v12, v2
	v_mov_b32_e32 v4, v166
	v_mov_b32_e32 v147, v146
	;; [unrolled: 1-line block ×16, first 2 shown]
	buffer_store_dword v0, off, s[88:91], 0 offset:136 ; 4-byte Folded Spill
.LBB1_12:                               ; =>This Inner Loop Header: Depth=1
	s_waitcnt vmcnt(56)
	buffer_store_dword v82, off, s[88:91], 0 offset:364 ; 4-byte Folded Spill
	s_nop 0
	buffer_store_dword v83, off, s[88:91], 0 offset:368 ; 4-byte Folded Spill
	buffer_store_dword v84, off, s[88:91], 0 offset:372 ; 4-byte Folded Spill
	buffer_store_dword v85, off, s[88:91], 0 offset:376 ; 4-byte Folded Spill
	s_waitcnt vmcnt(59)
	buffer_store_dword v78, off, s[88:91], 0 offset:348 ; 4-byte Folded Spill
	s_nop 0
	buffer_store_dword v79, off, s[88:91], 0 offset:352 ; 4-byte Folded Spill
	buffer_store_dword v80, off, s[88:91], 0 offset:356 ; 4-byte Folded Spill
	buffer_store_dword v81, off, s[88:91], 0 offset:360 ; 4-byte Folded Spill
	;; [unrolled: 6-line block ×4, first 2 shown]
	buffer_store_dword v62, off, s[88:91], 0 offset:300 ; 4-byte Folded Spill
	s_nop 0
	buffer_store_dword v63, off, s[88:91], 0 offset:304 ; 4-byte Folded Spill
	buffer_store_dword v64, off, s[88:91], 0 offset:308 ; 4-byte Folded Spill
	;; [unrolled: 1-line block ×4, first 2 shown]
	s_nop 0
	buffer_store_dword v27, off, s[88:91], 0 offset:288 ; 4-byte Folded Spill
	buffer_store_dword v28, off, s[88:91], 0 offset:292 ; 4-byte Folded Spill
	;; [unrolled: 1-line block ×4, first 2 shown]
	s_waitcnt lgkmcnt(0)
	; wave barrier
	buffer_load_dword v12, off, s[88:91], 0 offset:624 ; 4-byte Folded Reload
	v_pk_mov_b32 v[4:5], v[182:183], v[182:183] op_sel:[0,1]
	v_pk_mov_b32 v[26:27], v[178:179], v[178:179] op_sel:[0,1]
	;; [unrolled: 1-line block ×5, first 2 shown]
	v_mov_b32_e32 v227, v166
	v_pk_mov_b32 v[10:11], v[164:165], v[164:165] op_sel:[0,1]
	v_pk_mov_b32 v[60:61], v[36:37], v[36:37] op_sel:[0,1]
	v_pk_mov_b32 v[56:57], v[32:33], v[32:33] op_sel:[0,1]
	v_pk_mov_b32 v[58:59], v[34:35], v[34:35] op_sel:[0,1]
	v_pk_mov_b32 v[54:55], v[30:31], v[30:31] op_sel:[0,1]
	v_pk_mov_b32 v[62:63], v[174:175], v[174:175] op_sel:[0,1]
	v_pk_mov_b32 v[64:65], v[176:177], v[176:177] op_sel:[0,1]
	s_waitcnt vmcnt(0)
	ds_read_b128 v[206:209], v12
	ds_read_b128 v[210:213], v12 offset:16384
	buffer_load_dword v0, off, s[88:91], 0 offset:108 ; 4-byte Folded Reload
	s_waitcnt vmcnt(0)
	ds_read_b128 v[214:217], v0
	ds_read_b128 v[218:221], v0 offset:16384
	buffer_load_dword v0, off, s[88:91], 0 offset:112 ; 4-byte Folded Reload
	s_waitcnt vmcnt(0)
	ds_read_b128 v[222:225], v0
	ds_read_b128 v[228:231], v0 offset:16384
	buffer_load_dword v0, off, s[88:91], 0 offset:116 ; 4-byte Folded Reload
	s_waitcnt vmcnt(0)
	ds_read_b128 v[232:235], v0
	ds_read_b128 v[236:239], v0 offset:16384
	buffer_load_dword v0, off, s[88:91], 0 offset:120 ; 4-byte Folded Reload
	s_waitcnt vmcnt(0)
	ds_read_b128 v[240:243], v0
	ds_read_b128 v[244:247], v0 offset:16384
	buffer_load_dword v0, off, s[88:91], 0 offset:124 ; 4-byte Folded Reload
	s_waitcnt vmcnt(0)
	ds_read_b128 v[182:185], v0
	ds_read_b128 v[178:181], v0 offset:16384
	buffer_load_dword v0, off, s[88:91], 0 offset:128 ; 4-byte Folded Reload
	s_waitcnt vmcnt(0)
	ds_read_b128 v[166:169], v0
	ds_read_b128 v[162:165], v0 offset:16384
	buffer_load_dword v0, off, s[88:91], 0 offset:132 ; 4-byte Folded Reload
	s_waitcnt vmcnt(0)
	ds_read_b128 v[82:85], v0
	ds_read_b128 v[78:81], v0 offset:16384
	buffer_load_dword v0, off, s[88:91], 0 offset:164 ; 4-byte Folded Reload
	s_waitcnt vmcnt(0)
	ds_read_b128 v[248:251], v0 offset:8192
	ds_read_b128 v[252:255], v0 offset:24576
	buffer_load_dword v0, off, s[88:91], 0 offset:160 ; 4-byte Folded Reload
	s_waitcnt vmcnt(0)
	ds_read_b128 v[186:189], v0 offset:8192
	ds_read_b128 v[190:193], v0 offset:24576
	buffer_load_dword v0, off, s[88:91], 0 offset:156 ; 4-byte Folded Reload
	;; [unrolled: 4-line block ×6, first 2 shown]
	s_waitcnt vmcnt(0)
	ds_read_b128 v[170:173], v13 offset:8192
	buffer_load_dword v30, off, s[88:91], 0 offset:264 ; 4-byte Folded Reload
	buffer_load_dword v31, off, s[88:91], 0 offset:268 ; 4-byte Folded Reload
	;; [unrolled: 1-line block ×8, first 2 shown]
	ds_read_b128 v[174:177], v13 offset:24576
	buffer_load_dword v13, off, s[88:91], 0 offset:136 ; 4-byte Folded Reload
	s_waitcnt vmcnt(0)
	ds_read_b128 v[154:157], v13 offset:8192
	ds_read_b128 v[158:161], v13 offset:24576
	; sched_barrier mask(0x00000000)
	; wave barrier
	; sched_barrier mask(0x00000000)
	s_waitcnt lgkmcnt(14)
	v_mfma_f32_16x16x16f16 v[4:7], v[206:207], v[210:211], v[4:7]
	v_mfma_f32_16x16x16f16 v[4:7], v[208:209], v[212:213], v[4:7]
	; sched_barrier mask(0x00000000)
	s_setprio 1
	; sched_barrier mask(0x00000000)
	v_mfma_f32_16x16x16f16 v[8:11], v[206:207], v[252:253], v[8:11]
	v_mfma_f32_16x16x16f16 v[8:11], v[208:209], v[254:255], v[8:11]
	v_mfma_f32_16x16x16f16 v[206:209], v[248:249], v[210:211], v[150:153]
	v_mfma_f32_16x16x16f16 v[4:7], v[214:215], v[218:219], v[4:7]
	v_mfma_f32_16x16x16f16 v[206:209], v[250:251], v[212:213], v[206:209]
	v_mfma_f32_16x16x16f16 v[210:213], v[248:249], v[252:253], v[146:149]
	v_mfma_f32_16x16x16f16 v[4:7], v[216:217], v[220:221], v[4:7]
	s_waitcnt lgkmcnt(12)
	v_mfma_f32_16x16x16f16 v[8:11], v[214:215], v[190:191], v[8:11]
	v_mfma_f32_16x16x16f16 v[210:213], v[250:251], v[254:255], v[210:213]
	v_mfma_f32_16x16x16f16 v[8:11], v[216:217], v[192:193], v[8:11]
	v_mfma_f32_16x16x16f16 v[206:209], v[186:187], v[218:219], v[206:209]
	v_mfma_f32_16x16x16f16 v[4:7], v[222:223], v[228:229], v[4:7]
	v_mfma_f32_16x16x16f16 v[206:209], v[188:189], v[220:221], v[206:209]
	v_mfma_f32_16x16x16f16 v[210:213], v[186:187], v[190:191], v[210:213]
	v_mfma_f32_16x16x16f16 v[4:7], v[224:225], v[230:231], v[4:7]
	s_waitcnt lgkmcnt(10)
	v_mfma_f32_16x16x16f16 v[8:11], v[222:223], v[198:199], v[8:11]
	;; [unrolled: 9-line block ×6, first 2 shown]
	v_mfma_f32_16x16x16f16 v[0:3], v[144:145], v[2:3], v[110:113]
	v_mfma_f32_16x16x16f16 v[8:11], v[168:169], v[176:177], v[8:11]
	;; [unrolled: 1-line block ×6, first 2 shown]
	s_waitcnt lgkmcnt(0)
	v_mfma_f32_16x16x16f16 v[4:7], v[82:83], v[158:159], v[8:11]
	v_mfma_f32_16x16x16f16 v[236:239], v[84:85], v[160:161], v[4:7]
	;; [unrolled: 1-line block ×5, first 2 shown]
	s_nop 7
	s_nop 2
	buffer_store_dword v4, off, s[88:91], 0 offset:592 ; 4-byte Folded Spill
	s_nop 0
	buffer_store_dword v5, off, s[88:91], 0 offset:596 ; 4-byte Folded Spill
	buffer_store_dword v6, off, s[88:91], 0 offset:600 ; 4-byte Folded Spill
	;; [unrolled: 1-line block ×3, first 2 shown]
	v_mfma_f32_16x16x16f16 v[0:3], v[172:173], v[176:177], v[0:3]
	; sched_barrier mask(0x00000000)
	s_waitcnt lgkmcnt(0)
	; wave barrier
	; sched_barrier mask(0x00000000)
	v_mfma_f32_16x16x16f16 v[0:3], v[154:155], v[158:159], v[0:3]
	v_mfma_f32_16x16x16f16 v[0:3], v[156:157], v[160:161], v[0:3]
	s_nop 7
	s_nop 2
	buffer_store_dword v0, off, s[88:91], 0 offset:608 ; 4-byte Folded Spill
	s_nop 0
	buffer_store_dword v1, off, s[88:91], 0 offset:612 ; 4-byte Folded Spill
	buffer_store_dword v2, off, s[88:91], 0 offset:616 ; 4-byte Folded Spill
	;; [unrolled: 1-line block ×3, first 2 shown]
	; sched_barrier mask(0x00000000)
	s_setprio 0
	; sched_barrier mask(0x00000000)
	v_cndmask_b32_e32 v3, 0, v77, vcc
	v_cndmask_b32_e32 v2, 0, v76, vcc
	;; [unrolled: 1-line block ×4, first 2 shown]
	v_lshlrev_b32_e32 v13, 1, v227
	ds_write_b128 v13, v[0:3]
	buffer_load_dword v0, off, s[88:91], 0 offset:628 ; 4-byte Folded Reload
	v_cndmask_b32_e64 v7, 0, v73, s[0:1]
	v_cndmask_b32_e64 v6, 0, v72, s[0:1]
	;; [unrolled: 1-line block ×74, first 2 shown]
	s_waitcnt vmcnt(0)
	v_lshlrev_b32_e32 v1, 1, v0
	v_add_u32_e32 v0, v13, v1
	v_mov_b32_e32 v111, v1
	buffer_store_dword v111, off, s[88:91], 0 offset:588 ; 4-byte Folded Spill
	ds_write_b128 v0, v[4:7] offset:512
	buffer_load_dword v2, off, s[88:91], 0 offset:168 ; 4-byte Folded Reload
	buffer_load_dword v3, off, s[88:91], 0 offset:172 ; 4-byte Folded Reload
	v_cndmask_b32_e64 v7, 0, v29, s[34:35]
	v_cndmask_b32_e64 v6, 0, v28, s[34:35]
	;; [unrolled: 1-line block ×8, first 2 shown]
	s_waitcnt vmcnt(1)
	v_mov_b32_e32 v110, v2
	s_waitcnt vmcnt(0)
	v_add3_u32 v1, v227, v3, v2
	buffer_load_dword v2, off, s[88:91], 0 offset:632 ; 4-byte Folded Reload
	v_mov_b32_e32 v113, v3
	s_waitcnt vmcnt(0)
	v_lshlrev_b32_e32 v2, 1, v2
	v_add3_u32 v0, v0, s70, v2
	v_mov_b32_e32 v112, v2
	buffer_load_dword v2, off, s[88:91], 0 offset:636 ; 4-byte Folded Reload
	ds_write_b128 v0, v[8:11] offset:512
	buffer_store_dword v112, off, s[88:91], 0 offset:580 ; 4-byte Folded Spill
	v_cndmask_b32_e64 v11, 0, v37, s[36:37]
	v_cndmask_b32_e64 v10, 0, v36, s[36:37]
	;; [unrolled: 1-line block ×8, first 2 shown]
	s_waitcnt vmcnt(1)
	v_lshlrev_b32_e32 v2, 1, v2
	v_add3_u32 v0, v0, s70, v2
	v_mov_b32_e32 v134, v2
	buffer_store_dword v134, off, s[88:91], 0 offset:584 ; 4-byte Folded Spill
	ds_write_b128 v0, v[118:121] offset:512
	buffer_load_dword v2, off, s[88:91], 0 offset:176 ; 4-byte Folded Reload
	buffer_load_dword v3, off, s[88:91], 0 offset:180 ; 4-byte Folded Reload
	s_waitcnt vmcnt(1)
	v_mov_b32_e32 v118, v2
	s_waitcnt vmcnt(0)
	v_add3_u32 v1, v1, v2, v3
	buffer_load_dword v2, off, s[88:91], 0 offset:640 ; 4-byte Folded Reload
	v_mov_b32_e32 v119, v3
	s_waitcnt vmcnt(0)
	v_lshlrev_b32_e32 v2, 1, v2
	v_add3_u32 v0, v0, s70, v2
	v_mov_b32_e32 v120, v2
	buffer_load_dword v2, off, s[88:91], 0 offset:644 ; 4-byte Folded Reload
	ds_write_b128 v0, v[114:117] offset:512
	buffer_store_dword v120, off, s[88:91], 0 offset:572 ; 4-byte Folded Spill
	s_waitcnt vmcnt(1)
	v_lshlrev_b32_e32 v2, 1, v2
	v_add3_u32 v0, v0, s70, v2
	v_mov_b32_e32 v114, v2
	buffer_store_dword v114, off, s[88:91], 0 offset:576 ; 4-byte Folded Spill
	ds_write_b128 v0, v[106:109] offset:512
	buffer_load_dword v2, off, s[88:91], 0 offset:184 ; 4-byte Folded Reload
	buffer_load_dword v3, off, s[88:91], 0 offset:188 ; 4-byte Folded Reload
	s_waitcnt vmcnt(1)
	v_mov_b32_e32 v106, v2
	s_waitcnt vmcnt(0)
	v_add3_u32 v1, v1, v2, v3
	buffer_load_dword v2, off, s[88:91], 0 offset:648 ; 4-byte Folded Reload
	v_mov_b32_e32 v107, v3
	s_waitcnt vmcnt(0)
	v_lshlrev_b32_e32 v2, 1, v2
	v_add3_u32 v0, v0, s70, v2
	v_mov_b32_e32 v108, v2
	buffer_load_dword v2, off, s[88:91], 0 offset:652 ; 4-byte Folded Reload
	ds_write_b128 v0, v[102:105] offset:512
	buffer_store_dword v108, off, s[88:91], 0 offset:548 ; 4-byte Folded Spill
	;; [unrolled: 21-line block ×5, first 2 shown]
	s_waitcnt vmcnt(1)
	v_lshlrev_b32_e32 v2, 1, v2
	v_add3_u32 v0, v0, s70, v2
	v_mov_b32_e32 v78, v2
	buffer_store_dword v78, off, s[88:91], 0 offset:528 ; 4-byte Folded Spill
	ds_write_b128 v0, v[74:77] offset:512
	buffer_load_dword v2, off, s[88:91], 0 offset:680 ; 4-byte Folded Reload
	buffer_load_dword v3, off, s[88:91], 0 offset:216 ; 4-byte Folded Reload
	s_waitcnt vmcnt(1)
	v_mov_b32_e32 v74, v2
	s_waitcnt vmcnt(0)
	v_add3_u32 v1, v1, v2, v3
	buffer_load_dword v2, off, s[88:91], 0 offset:684 ; 4-byte Folded Reload
	v_mov_b32_e32 v75, v3
	v_cndmask_b32_e64 v3, 0, v51, s[30:31]
	v_cndmask_b32_e64 v51, 0, v31, s[38:39]
	;; [unrolled: 1-line block ×3, first 2 shown]
	s_waitcnt vmcnt(0)
	v_lshlrev_b32_e32 v2, 1, v2
	v_add3_u32 v0, v0, s70, v2
	v_mov_b32_e32 v76, v2
	buffer_load_dword v2, off, s[88:91], 0 offset:688 ; 4-byte Folded Reload
	ds_write_b128 v0, v[70:73] offset:512
	buffer_store_dword v76, off, s[88:91], 0 offset:500 ; 4-byte Folded Spill
	s_waitcnt vmcnt(1)
	v_lshlrev_b32_e32 v2, 1, v2
	v_add3_u32 v0, v0, s70, v2
	v_mov_b32_e32 v70, v2
	buffer_store_dword v0, off, s[88:91], 0 offset:464 ; 4-byte Folded Spill
	buffer_store_dword v70, off, s[88:91], 0 offset:504 ; 4-byte Folded Spill
	ds_write_b128 v0, v[66:69] offset:512
	buffer_load_dword v0, off, s[88:91], 0 offset:220 ; 4-byte Folded Reload
	buffer_load_dword v2, off, s[88:91], 0 offset:224 ; 4-byte Folded Reload
	s_waitcnt vmcnt(1)
	v_mov_b32_e32 v66, v0
	s_waitcnt vmcnt(0)
	v_add3_u32 v1, v1, v0, v2
	buffer_store_dword v1, off, s[88:91], 0 offset:460 ; 4-byte Folded Spill
	buffer_load_dword v14, off, s[88:91], 0 offset:364 ; 4-byte Folded Reload
	buffer_load_dword v15, off, s[88:91], 0 offset:368 ; 4-byte Folded Reload
	;; [unrolled: 1-line block ×4, first 2 shown]
	v_cndmask_b32_e64 v1, 0, v49, s[30:31]
	v_cndmask_b32_e64 v0, 0, v48, s[30:31]
	;; [unrolled: 1-line block ×4, first 2 shown]
	v_mov_b32_e32 v67, v2
	v_cndmask_b32_e64 v2, 0, v50, s[30:31]
	v_cndmask_b32_e64 v50, 0, v30, s[38:39]
	v_cndmask_b32_e64 v30, 0, v126, s[48:49]
	s_waitcnt vmcnt(0)
	v_cndmask_b32_e64 v25, 0, v17, s[52:53]
	v_cndmask_b32_e64 v24, 0, v16, s[52:53]
	;; [unrolled: 1-line block ×4, first 2 shown]
	buffer_load_dword v14, off, s[88:91], 0 offset:348 ; 4-byte Folded Reload
	buffer_load_dword v15, off, s[88:91], 0 offset:352 ; 4-byte Folded Reload
	;; [unrolled: 1-line block ×4, first 2 shown]
	s_waitcnt vmcnt(0)
	v_cndmask_b32_e64 v21, 0, v17, s[54:55]
	v_cndmask_b32_e64 v20, 0, v16, s[54:55]
	;; [unrolled: 1-line block ×4, first 2 shown]
	buffer_load_dword v14, off, s[88:91], 0 offset:332 ; 4-byte Folded Reload
	buffer_load_dword v15, off, s[88:91], 0 offset:336 ; 4-byte Folded Reload
	;; [unrolled: 1-line block ×17, first 2 shown]
	s_waitcnt vmcnt(13)
	v_cndmask_b32_e64 v17, 0, v17, s[56:57]
	v_cndmask_b32_e64 v16, 0, v16, s[56:57]
	;; [unrolled: 1-line block ×4, first 2 shown]
	s_waitcnt vmcnt(0)
	v_lshlrev_b32_e32 v13, 1, v68
	ds_write_b128 v13, v[0:3] offset:16384
	v_add3_u32 v0, v13, s86, v111
	ds_write_b128 v0, v[4:7] offset:512
	v_add3_u32 v0, v0, s70, v112
	;; [unrolled: 2-line block ×8, first 2 shown]
	v_add3_u32 v1, v68, v113, v110
	ds_write_b128 v0, v[30:33] offset:512
	v_add3_u32 v0, v0, s70, v94
	v_add3_u32 v1, v1, v118, v119
	ds_write_b128 v0, v[26:29] offset:512
	v_add3_u32 v0, v0, s70, v92
	;; [unrolled: 3-line block ×4, first 2 shown]
	v_cndmask_b32_e64 v57, 0, v57, s[58:59]
	v_cndmask_b32_e64 v56, 0, v56, s[58:59]
	v_cndmask_b32_e64 v55, 0, v55, s[58:59]
	v_cndmask_b32_e64 v54, 0, v54, s[58:59]
	v_add3_u32 v1, v1, v90, v91
	ds_write_b128 v0, v[14:17] offset:512
	v_add3_u32 v0, v0, s70, v78
	v_cndmask_b32_e64 v61, 0, v61, s[60:61]
	v_cndmask_b32_e64 v60, 0, v60, s[60:61]
	v_cndmask_b32_e64 v59, 0, v59, s[60:61]
	v_cndmask_b32_e64 v58, 0, v58, s[60:61]
	v_add3_u32 v1, v1, v82, v83
	ds_write_b128 v0, v[54:57] offset:512
	v_add3_u32 v0, v0, s70, v76
	;; [unrolled: 7-line block ×3, first 2 shown]
	buffer_store_dword v0, off, s[88:91], 0 offset:456 ; 4-byte Folded Spill
	ds_write_b128 v0, v[62:65] offset:512
	v_add3_u32 v0, v1, v66, v67
	buffer_store_dword v0, off, s[88:91], 0 offset:452 ; 4-byte Folded Spill
	buffer_load_dword v0, off, s[88:91], 0 offset:104 ; 4-byte Folded Reload
	v_mov_b32_e32 v56, v74
	s_waitcnt vmcnt(0)
	v_add_u32_e32 v1, v226, v0
	buffer_load_dword v0, off, s[88:91], 0 offset:100 ; 4-byte Folded Reload
	s_waitcnt vmcnt(0)
	v_add_u32_e32 v0, v226, v0
	buffer_store_dword v1, off, s[88:91], 0 offset:264 ; 4-byte Folded Spill
	buffer_store_dword v0, off, s[88:91], 0 offset:248 ; 4-byte Folded Spill
	buffer_load_dwordx4 v[130:133], v1, s[72:75], 0 offen offset:1024
	buffer_load_dwordx4 v[126:129], v0, s[72:75], 0 offen offset:1024
	s_nop 0
	buffer_load_dword v0, off, s[88:91], 0 offset:96 ; 4-byte Folded Reload
	s_waitcnt vmcnt(0)
	v_add_u32_e32 v1, v226, v0
	buffer_load_dword v0, off, s[88:91], 0 offset:92 ; 4-byte Folded Reload
	s_waitcnt vmcnt(0)
	v_add_u32_e32 v0, v226, v0
	buffer_store_dword v1, off, s[88:91], 0 offset:284 ; 4-byte Folded Spill
	buffer_store_dword v0, off, s[88:91], 0 offset:280 ; 4-byte Folded Spill
	buffer_load_dwordx4 v[122:125], v1, s[72:75], 0 offen offset:1024
	buffer_load_dwordx4 v[118:121], v0, s[72:75], 0 offen offset:1024
	s_nop 0
	buffer_load_dword v0, off, s[88:91], 0 offset:88 ; 4-byte Folded Reload
	;; [unrolled: 11-line block ×11, first 2 shown]
	s_waitcnt vmcnt(0)
	v_add_u32_e32 v1, v226, v0
	buffer_load_dword v0, off, s[88:91], 0 offset:12 ; 4-byte Folded Reload
	s_waitcnt vmcnt(0)
	v_add_u32_e32 v0, v226, v0
	buffer_store_dword v1, off, s[88:91], 0 offset:436 ; 4-byte Folded Spill
	buffer_store_dword v0, off, s[88:91], 0 offset:432 ; 4-byte Folded Spill
	buffer_load_dwordx4 v[202:205], v1, s[76:79], 0 offen offset:1024
	buffer_load_dwordx4 v[206:209], v0, s[76:79], 0 offen offset:1024
	buffer_load_dword v255, off, s[88:91], 0 offset:244 ; 4-byte Folded Reload
	s_waitcnt vmcnt(0)
	v_add_u32_e32 v1, v226, v255
	buffer_load_dword v0, off, s[88:91], 0 offset:8 ; 4-byte Folded Reload
	s_waitcnt vmcnt(0)
	v_add_u32_e32 v0, v226, v0
	buffer_store_dword v0, off, s[88:91], 0 offset:440 ; 4-byte Folded Spill
	buffer_load_dwordx4 v[210:213], v1, s[76:79], 0 offen offset:1024
	buffer_load_dwordx4 v[214:217], v0, s[76:79], 0 offen offset:1024
	buffer_load_dword v254, off, s[88:91], 0 offset:240 ; 4-byte Folded Reload
	s_waitcnt vmcnt(0)
	v_add_u32_e32 v1, v226, v254
	buffer_load_dword v0, off, s[88:91], 0 offset:4 ; 4-byte Folded Reload
	s_waitcnt vmcnt(0)
	v_add_u32_e32 v0, v226, v0
	buffer_store_dword v0, off, s[88:91], 0 offset:444 ; 4-byte Folded Spill
	buffer_load_dwordx4 v[218:221], v1, s[76:79], 0 offen offset:1024
	buffer_load_dwordx4 v[222:225], v0, s[76:79], 0 offen offset:1024
	buffer_load_dword v245, off, s[88:91], 0 offset:236 ; 4-byte Folded Reload
	s_waitcnt vmcnt(0)
	v_add_u32_e32 v1, v226, v245
	buffer_load_dword v0, off, s[88:91], 0  ; 4-byte Folded Reload
	s_waitcnt vmcnt(0)
	v_add_u32_e32 v0, v226, v0
	buffer_store_dword v0, off, s[88:91], 0 offset:448 ; 4-byte Folded Spill
	buffer_load_dwordx4 v[2:5], v1, s[76:79], 0 offen offset:1024
	s_waitcnt vmcnt(0)
	buffer_store_dword v2, off, s[88:91], 0 offset:556 ; 4-byte Folded Spill
	s_nop 0
	buffer_store_dword v3, off, s[88:91], 0 offset:560 ; 4-byte Folded Spill
	buffer_store_dword v4, off, s[88:91], 0 offset:564 ; 4-byte Folded Spill
	;; [unrolled: 1-line block ×3, first 2 shown]
	buffer_load_dwordx4 v[0:3], v0, s[76:79], 0 offen offset:1024
	s_waitcnt vmcnt(0)
	buffer_store_dword v0, off, s[88:91], 0 offset:508 ; 4-byte Folded Spill
	s_nop 0
	buffer_store_dword v1, off, s[88:91], 0 offset:512 ; 4-byte Folded Spill
	buffer_store_dword v2, off, s[88:91], 0 offset:516 ; 4-byte Folded Spill
	;; [unrolled: 1-line block ×3, first 2 shown]
	buffer_load_dword v244, off, s[88:91], 0 offset:232 ; 4-byte Folded Reload
	buffer_load_dword v227, off, s[88:91], 0 offset:228 ; 4-byte Folded Reload
	s_waitcnt vmcnt(1)
	v_add_u32_e32 v0, v226, v244
	buffer_load_dwordx4 v[2:5], v0, s[76:79], 0 offen offset:1024
	s_waitcnt vmcnt(1)
	v_add_u32_e32 v1, v226, v227
	s_waitcnt vmcnt(0)
	buffer_store_dword v2, off, s[88:91], 0 offset:484 ; 4-byte Folded Spill
	s_nop 0
	buffer_store_dword v3, off, s[88:91], 0 offset:488 ; 4-byte Folded Spill
	buffer_store_dword v4, off, s[88:91], 0 offset:492 ; 4-byte Folded Spill
	;; [unrolled: 1-line block ×3, first 2 shown]
	buffer_load_dwordx4 v[0:3], v1, s[76:79], 0 offen offset:1024
	s_waitcnt vmcnt(0)
	buffer_store_dword v0, off, s[88:91], 0 offset:468 ; 4-byte Folded Spill
	s_nop 0
	buffer_store_dword v1, off, s[88:91], 0 offset:472 ; 4-byte Folded Spill
	buffer_store_dword v2, off, s[88:91], 0 offset:476 ; 4-byte Folded Spill
	buffer_store_dword v3, off, s[88:91], 0 offset:480 ; 4-byte Folded Spill
	s_waitcnt lgkmcnt(0)
	; wave barrier
	ds_read_b128 v[186:189], v12
	ds_read_b128 v[190:193], v12 offset:16384
	buffer_load_dword v0, off, s[88:91], 0 offset:108 ; 4-byte Folded Reload
	s_waitcnt vmcnt(0)
	ds_read_b128 v[194:197], v0
	ds_read_b128 v[198:201], v0 offset:16384
	buffer_load_dword v0, off, s[88:91], 0 offset:112 ; 4-byte Folded Reload
	s_waitcnt vmcnt(0)
	;; [unrolled: 4-line block ×8, first 2 shown]
	ds_read_b128 v[4:7], v0 offset:8192
	ds_read_b128 v[0:3], v0 offset:24576
	buffer_load_dword v8, off, s[88:91], 0 offset:160 ; 4-byte Folded Reload
	s_waitcnt vmcnt(0)
	ds_read_b128 v[12:15], v8 offset:8192
	ds_read_b128 v[8:11], v8 offset:24576
	buffer_load_dword v16, off, s[88:91], 0 offset:156 ; 4-byte Folded Reload
	s_waitcnt vmcnt(0)
	;; [unrolled: 4-line block ×7, first 2 shown]
	ds_read_b128 v[154:157], v57 offset:8192
	ds_read_b128 v[158:161], v57 offset:24576
	; sched_barrier mask(0x00000000)
	; wave barrier
	; sched_barrier mask(0x00000000)
	s_waitcnt lgkmcnt(14)
	v_mfma_f32_16x16x16f16 v[240:243], v[186:187], v[190:191], v[240:243]
	v_mfma_f32_16x16x16f16 v[240:243], v[188:189], v[192:193], v[240:243]
	; sched_barrier mask(0x00000000)
	s_setprio 1
	; sched_barrier mask(0x00000000)
	v_mfma_f32_16x16x16f16 v[236:239], v[186:187], v[0:1], v[236:239]
	v_mfma_f32_16x16x16f16 v[186:189], v[188:189], v[2:3], v[236:239]
	s_nop 7
	s_nop 1
	buffer_load_dword v236, off, s[88:91], 0 offset:592 ; 4-byte Folded Reload
	buffer_load_dword v237, off, s[88:91], 0 offset:596 ; 4-byte Folded Reload
	;; [unrolled: 1-line block ×4, first 2 shown]
	s_waitcnt lgkmcnt(12)
	v_mfma_f32_16x16x16f16 v[186:189], v[194:195], v[8:9], v[186:189]
	v_mfma_f32_16x16x16f16 v[186:189], v[196:197], v[10:11], v[186:189]
	s_waitcnt vmcnt(0)
	v_mfma_f32_16x16x16f16 v[236:239], v[4:5], v[190:191], v[236:239]
	v_mfma_f32_16x16x16f16 v[190:193], v[6:7], v[192:193], v[236:239]
	s_nop 7
	s_nop 1
	buffer_load_dword v236, off, s[88:91], 0 offset:608 ; 4-byte Folded Reload
	buffer_load_dword v237, off, s[88:91], 0 offset:612 ; 4-byte Folded Reload
	;; [unrolled: 1-line block ×4, first 2 shown]
	v_mfma_f32_16x16x16f16 v[190:193], v[12:13], v[198:199], v[190:193]
	v_mfma_f32_16x16x16f16 v[190:193], v[14:15], v[200:201], v[190:193]
	s_waitcnt vmcnt(0)
	v_mfma_f32_16x16x16f16 v[236:239], v[4:5], v[0:1], v[236:239]
	v_mfma_f32_16x16x16f16 v[0:3], v[6:7], v[2:3], v[236:239]
	;; [unrolled: 1-line block ×8, first 2 shown]
	s_waitcnt lgkmcnt(10)
	v_mfma_f32_16x16x16f16 v[8:11], v[246:247], v[16:17], v[186:189]
	v_mfma_f32_16x16x16f16 v[8:11], v[248:249], v[18:19], v[8:11]
	;; [unrolled: 1-line block ×6, first 2 shown]
	s_waitcnt lgkmcnt(8)
	v_mfma_f32_16x16x16f16 v[8:11], v[228:229], v[24:25], v[8:11]
	v_mfma_f32_16x16x16f16 v[8:11], v[230:231], v[26:27], v[8:11]
	v_mfma_f32_16x16x16f16 v[12:15], v[28:29], v[232:233], v[12:15]
	v_mfma_f32_16x16x16f16 v[4:7], v[40:41], v[44:45], v[4:7]
	v_mfma_f32_16x16x16f16 v[0:3], v[20:21], v[16:17], v[0:3]
	v_mfma_f32_16x16x16f16 v[12:15], v[30:31], v[234:235], v[12:15]
	v_mfma_f32_16x16x16f16 v[4:7], v[42:43], v[46:47], v[4:7]
	s_waitcnt lgkmcnt(6)
	v_mfma_f32_16x16x16f16 v[8:11], v[40:41], v[32:33], v[8:11]
	v_mfma_f32_16x16x16f16 v[0:3], v[22:23], v[18:19], v[0:3]
	v_mfma_f32_16x16x16f16 v[8:11], v[42:43], v[34:35], v[8:11]
	v_mfma_f32_16x16x16f16 v[12:15], v[36:37], v[44:45], v[12:15]
	v_mfma_f32_16x16x16f16 v[4:7], v[182:183], v[178:179], v[4:7]
	v_mfma_f32_16x16x16f16 v[0:3], v[28:29], v[24:25], v[0:3]
	v_mfma_f32_16x16x16f16 v[12:15], v[38:39], v[46:47], v[12:15]
	v_mfma_f32_16x16x16f16 v[4:7], v[184:185], v[180:181], v[4:7]
	s_waitcnt lgkmcnt(4)
	v_mfma_f32_16x16x16f16 v[8:11], v[182:183], v[48:49], v[8:11]
	;; [unrolled: 9-line block ×4, first 2 shown]
	v_mfma_f32_16x16x16f16 v[0:3], v[54:55], v[50:51], v[0:3]
	v_mfma_f32_16x16x16f16 v[162:165], v[152:153], v[160:161], v[4:7]
	;; [unrolled: 1-line block ×6, first 2 shown]
	; sched_barrier mask(0x00000000)
	s_waitcnt lgkmcnt(0)
	; wave barrier
	; sched_barrier mask(0x00000000)
	v_mfma_f32_16x16x16f16 v[0:3], v[154:155], v[158:159], v[0:3]
	v_mfma_f32_16x16x16f16 v[146:149], v[156:157], v[160:161], v[0:3]
	; sched_barrier mask(0x00000000)
	s_setprio 0
	; sched_barrier mask(0x00000000)
	v_cndmask_b32_e64 v53, 0, v75, s[24:25]
	buffer_load_dword v75, off, s[88:91], 0 offset:224 ; 4-byte Folded Reload
	v_cndmask_b32_e64 v52, 0, v74, s[24:25]
	buffer_load_dword v74, off, s[88:91], 0 offset:464 ; 4-byte Folded Reload
	;; [unrolled: 2-line block ×3, first 2 shown]
	s_nop 2
	v_cndmask_b32_e32 v3, 0, v133, vcc
	v_cndmask_b32_e32 v2, 0, v132, vcc
	;; [unrolled: 1-line block ×4, first 2 shown]
	v_cndmask_b32_e64 v7, 0, v129, s[0:1]
	v_cndmask_b32_e64 v6, 0, v128, s[0:1]
	;; [unrolled: 1-line block ×57, first 2 shown]
	s_add_i32 s71, s71, 2
	s_cmp_lt_i32 s71, s87
	s_waitcnt vmcnt(2)
	v_lshlrev_b32_e32 v57, 1, v75
	s_waitcnt vmcnt(1)
	v_add3_u32 v74, v74, s70, v57
	ds_write_b128 v74, v[0:3]
	s_waitcnt vmcnt(0)
	v_add_u32_e32 v0, v74, v101
	ds_write_b128 v0, v[4:7] offset:512
	buffer_load_dword v99, off, s[88:91], 0 offset:172 ; 4-byte Folded Reload
	buffer_load_dword v100, off, s[88:91], 0 offset:168 ; 4-byte Folded Reload
	buffer_load_dword v1, off, s[88:91], 0 offset:460 ; 4-byte Folded Reload
	buffer_load_dword v81, off, s[88:91], 0 offset:580 ; 4-byte Folded Reload
	buffer_load_dword v83, off, s[88:91], 0 offset:584 ; 4-byte Folded Reload
	v_cndmask_b32_e64 v3, 0, v65, s[30:31]
	v_cndmask_b32_e64 v2, 0, v64, s[30:31]
	v_cndmask_b32_e64 v7, 0, v61, s[34:35]
	v_cndmask_b32_e64 v6, 0, v60, s[34:35]
	v_cndmask_b32_e64 v5, 0, v59, s[34:35]
	v_cndmask_b32_e64 v4, 0, v58, s[34:35]
	s_waitcnt vmcnt(2)
	v_add3_u32 v1, v1, v99, v100
	s_waitcnt vmcnt(1)
	v_add3_u32 v0, v0, s70, v81
	ds_write_b128 v0, v[8:11] offset:512
	s_waitcnt vmcnt(0)
	v_add3_u32 v0, v0, s70, v83
	ds_write_b128 v0, v[12:15] offset:512
	buffer_load_dword v74, off, s[88:91], 0 offset:180 ; 4-byte Folded Reload
	buffer_load_dword v82, off, s[88:91], 0 offset:176 ; 4-byte Folded Reload
	buffer_load_dword v84, off, s[88:91], 0 offset:572 ; 4-byte Folded Reload
	buffer_load_dword v86, off, s[88:91], 0 offset:576 ; 4-byte Folded Reload
	v_cndmask_b32_e64 v11, 0, v113, s[36:37]
	v_cndmask_b32_e64 v10, 0, v112, s[36:37]
	v_cndmask_b32_e64 v9, 0, v111, s[36:37]
	v_cndmask_b32_e64 v8, 0, v110, s[36:37]
	v_cndmask_b32_e64 v15, 0, v137, s[38:39]
	v_cndmask_b32_e64 v14, 0, v136, s[38:39]
	v_cndmask_b32_e64 v13, 0, v135, s[38:39]
	v_cndmask_b32_e64 v12, 0, v134, s[38:39]
	s_waitcnt vmcnt(2)
	v_add3_u32 v1, v1, v82, v74
	s_waitcnt vmcnt(1)
	v_add3_u32 v0, v0, s70, v84
	ds_write_b128 v0, v[16:19] offset:512
	s_waitcnt vmcnt(0)
	v_add3_u32 v0, v0, s70, v86
	ds_write_b128 v0, v[20:23] offset:512
	buffer_load_dword v76, off, s[88:91], 0 offset:188 ; 4-byte Folded Reload
	buffer_load_dword v85, off, s[88:91], 0 offset:184 ; 4-byte Folded Reload
	buffer_load_dword v87, off, s[88:91], 0 offset:548 ; 4-byte Folded Reload
	buffer_load_dword v89, off, s[88:91], 0 offset:552 ; 4-byte Folded Reload
	v_cndmask_b32_e64 v19, 0, v141, s[40:41]
	v_cndmask_b32_e64 v18, 0, v140, s[40:41]
	;; [unrolled: 20-line block ×4, first 2 shown]
	v_cndmask_b32_e64 v33, 0, v211, s[48:49]
	v_cndmask_b32_e64 v32, 0, v210, s[48:49]
	;; [unrolled: 1-line block ×6, first 2 shown]
	s_waitcnt vmcnt(2)
	v_add3_u32 v1, v1, v91, v78
	s_waitcnt vmcnt(1)
	v_add3_u32 v0, v0, s70, v93
	ds_write_b128 v0, v[40:43] offset:512
	s_waitcnt vmcnt(0)
	v_add3_u32 v0, v0, s70, v95
	ds_write_b128 v0, v[44:47] offset:512
	buffer_load_dword v79, off, s[88:91], 0 offset:212 ; 4-byte Folded Reload
	buffer_load_dword v94, off, s[88:91], 0 offset:208 ; 4-byte Folded Reload
	;; [unrolled: 1-line block ×6, first 2 shown]
	v_cndmask_b32_e64 v43, 0, v221, s[52:53]
	v_cndmask_b32_e64 v42, 0, v220, s[52:53]
	;; [unrolled: 1-line block ×8, first 2 shown]
	s_waitcnt vmcnt(4)
	v_add3_u32 v1, v1, v94, v79
	s_waitcnt vmcnt(3)
	v_add3_u32 v0, v0, s70, v96
	ds_write_b128 v0, v[48:51] offset:512
	s_waitcnt vmcnt(2)
	v_add3_u32 v0, v0, s70, v97
	ds_write_b128 v0, v[52:55] offset:512
	;; [unrolled: 3-line block ×3, first 2 shown]
	buffer_load_dword v70, off, s[88:91], 0 offset:504 ; 4-byte Folded Reload
	s_waitcnt vmcnt(0)
	v_add3_u32 v0, v0, s70, v70
	ds_write_b128 v0, v[66:69] offset:512
	buffer_load_dword v66, off, s[88:91], 0 offset:220 ; 4-byte Folded Reload
	v_add3_u32 v1, v1, v56, v80
	v_cndmask_b32_e64 v0, 0, v62, s[30:31]
	buffer_load_dword v48, off, s[88:91], 0 offset:556 ; 4-byte Folded Reload
	buffer_load_dword v49, off, s[88:91], 0 offset:560 ; 4-byte Folded Reload
	;; [unrolled: 1-line block ×12, first 2 shown]
	s_waitcnt vmcnt(12)
	v_add3_u32 v166, v1, v66, v75
	v_cndmask_b32_e64 v1, 0, v63, s[30:31]
	buffer_load_dword v62, off, s[88:91], 0 offset:468 ; 4-byte Folded Reload
	buffer_load_dword v63, off, s[88:91], 0 offset:472 ; 4-byte Folded Reload
	;; [unrolled: 1-line block ×5, first 2 shown]
	s_waitcnt vmcnt(13)
	v_cndmask_b32_e64 v51, 0, v51, s[56:57]
	v_cndmask_b32_e64 v50, 0, v50, s[56:57]
	v_cndmask_b32_e64 v49, 0, v49, s[56:57]
	v_cndmask_b32_e64 v48, 0, v48, s[56:57]
	s_waitcnt vmcnt(9)
	v_cndmask_b32_e64 v55, 0, v55, s[58:59]
	v_cndmask_b32_e64 v54, 0, v54, s[58:59]
	v_cndmask_b32_e64 v53, 0, v53, s[58:59]
	v_cndmask_b32_e64 v52, 0, v52, s[58:59]
	;; [unrolled: 5-line block ×3, first 2 shown]
	s_waitcnt vmcnt(1)
	v_cndmask_b32_e64 v65, 0, v65, s[62:63]
	s_waitcnt vmcnt(0)
	v_add3_u32 v57, v67, s70, v57
	ds_write_b128 v57, v[0:3]
	v_add_u32_e32 v0, v57, v101
	ds_write_b128 v0, v[4:7] offset:512
	v_add3_u32 v0, v0, s70, v81
	ds_write_b128 v0, v[8:11] offset:512
	v_add3_u32 v0, v0, s70, v83
	;; [unrolled: 2-line block ×7, first 2 shown]
	buffer_load_dword v1, off, s[88:91], 0 offset:452 ; 4-byte Folded Reload
	ds_write_b128 v0, v[32:35] offset:512
	v_add3_u32 v0, v0, s70, v92
	ds_write_b128 v0, v[36:39] offset:512
	v_add3_u32 v0, v0, s70, v93
	;; [unrolled: 2-line block ×6, first 2 shown]
	v_cndmask_b32_e64 v64, 0, v64, s[62:63]
	v_cndmask_b32_e64 v63, 0, v63, s[62:63]
	v_cndmask_b32_e64 v62, 0, v62, s[62:63]
	ds_write_b128 v0, v[58:61] offset:512
	v_add3_u32 v0, v0, s70, v70
	ds_write_b128 v0, v[62:65] offset:512
	buffer_load_dword v0, off, s[88:91], 0 offset:264 ; 4-byte Folded Reload
	s_waitcnt vmcnt(1)
	v_add3_u32 v1, v1, v99, v100
	v_add3_u32 v1, v1, v82, v74
	;; [unrolled: 1-line block ×8, first 2 shown]
	s_waitcnt vmcnt(0)
	buffer_load_dwordx4 v[74:77], v0, s[72:75], 0 offen offset:1536
	s_nop 0
	buffer_load_dword v0, off, s[88:91], 0 offset:248 ; 4-byte Folded Reload
	s_waitcnt vmcnt(0)
	buffer_load_dwordx4 v[70:73], v0, s[72:75], 0 offen offset:1536
	s_nop 0
	buffer_load_dword v0, off, s[88:91], 0 offset:284 ; 4-byte Folded Reload
	s_waitcnt vmcnt(0)
	buffer_load_dwordx4 v[66:69], v0, s[72:75], 0 offen offset:1536
	s_nop 0
	buffer_load_dword v0, off, s[88:91], 0 offset:280 ; 4-byte Folded Reload
	s_waitcnt vmcnt(0)
	buffer_load_dwordx4 v[118:121], v0, s[72:75], 0 offen offset:1536
	s_nop 0
	buffer_load_dword v0, off, s[88:91], 0 offset:316 ; 4-byte Folded Reload
	s_waitcnt vmcnt(0)
	buffer_load_dwordx4 v[114:117], v0, s[72:75], 0 offen offset:1536
	s_nop 0
	buffer_load_dword v0, off, s[88:91], 0 offset:300 ; 4-byte Folded Reload
	s_waitcnt vmcnt(0)
	buffer_load_dwordx4 v[106:109], v0, s[72:75], 0 offen offset:1536
	s_nop 0
	buffer_load_dword v0, off, s[88:91], 0 offset:348 ; 4-byte Folded Reload
	s_waitcnt vmcnt(0)
	buffer_load_dwordx4 v[102:105], v0, s[72:75], 0 offen offset:1536
	s_nop 0
	buffer_load_dword v0, off, s[88:91], 0 offset:332 ; 4-byte Folded Reload
	s_waitcnt vmcnt(0)
	buffer_load_dwordx4 v[98:101], v0, s[72:75], 0 offen offset:1536
	s_nop 0
	buffer_load_dword v0, off, s[88:91], 0 offset:380 ; 4-byte Folded Reload
	s_waitcnt vmcnt(0)
	buffer_load_dwordx4 v[94:97], v0, s[72:75], 0 offen offset:1536
	s_nop 0
	buffer_load_dword v0, off, s[88:91], 0 offset:364 ; 4-byte Folded Reload
	s_waitcnt vmcnt(0)
	buffer_load_dwordx4 v[90:93], v0, s[72:75], 0 offen offset:1536
	s_nop 0
	buffer_load_dword v0, off, s[88:91], 0 offset:388 ; 4-byte Folded Reload
	s_waitcnt vmcnt(0)
	buffer_load_dwordx4 v[86:89], v0, s[72:75], 0 offen offset:1536
	s_nop 0
	buffer_load_dword v0, off, s[88:91], 0 offset:384 ; 4-byte Folded Reload
	s_waitcnt vmcnt(0)
	buffer_load_dwordx4 v[22:25], v0, s[72:75], 0 offen offset:1536
	s_nop 0
	buffer_load_dword v0, off, s[88:91], 0 offset:396 ; 4-byte Folded Reload
	s_waitcnt vmcnt(0)
	buffer_load_dwordx4 v[18:21], v0, s[72:75], 0 offen offset:1536
	s_nop 0
	buffer_load_dword v0, off, s[88:91], 0 offset:392 ; 4-byte Folded Reload
	s_waitcnt vmcnt(0)
	buffer_load_dwordx4 v[14:17], v0, s[72:75], 0 offen offset:1536
	s_nop 0
	buffer_load_dword v0, off, s[88:91], 0 offset:404 ; 4-byte Folded Reload
	s_waitcnt vmcnt(0)
	buffer_load_dwordx4 v[42:45], v0, s[72:75], 0 offen offset:1536
	s_nop 0
	buffer_load_dword v0, off, s[88:91], 0 offset:400 ; 4-byte Folded Reload
	s_waitcnt vmcnt(0)
	buffer_load_dwordx4 v[38:41], v0, s[72:75], 0 offen offset:1536
	s_nop 0
	buffer_load_dword v0, off, s[88:91], 0 offset:412 ; 4-byte Folded Reload
	s_waitcnt vmcnt(0)
	buffer_load_dwordx4 v[48:51], v0, s[76:79], 0 offen offset:1536
	s_nop 0
	buffer_load_dword v0, off, s[88:91], 0 offset:408 ; 4-byte Folded Reload
	s_waitcnt vmcnt(0)
	buffer_load_dwordx4 v[178:181], v0, s[76:79], 0 offen offset:1536
	s_nop 0
	buffer_load_dword v0, off, s[88:91], 0 offset:420 ; 4-byte Folded Reload
	s_waitcnt vmcnt(0)
	buffer_load_dwordx4 v[0:3], v0, s[76:79], 0 offen offset:1536
	s_waitcnt vmcnt(0)
	buffer_store_dword v0, off, s[88:91], 0 offset:248 ; 4-byte Folded Spill
	s_nop 0
	buffer_store_dword v1, off, s[88:91], 0 offset:252 ; 4-byte Folded Spill
	buffer_store_dword v2, off, s[88:91], 0 offset:256 ; 4-byte Folded Spill
	;; [unrolled: 1-line block ×3, first 2 shown]
	buffer_load_dword v0, off, s[88:91], 0 offset:416 ; 4-byte Folded Reload
	s_waitcnt vmcnt(0)
	buffer_load_dwordx4 v[0:3], v0, s[76:79], 0 offen offset:1536
	s_waitcnt vmcnt(0)
	buffer_store_dword v0, off, s[88:91], 0 offset:264 ; 4-byte Folded Spill
	s_nop 0
	buffer_store_dword v1, off, s[88:91], 0 offset:268 ; 4-byte Folded Spill
	buffer_store_dword v2, off, s[88:91], 0 offset:272 ; 4-byte Folded Spill
	;; [unrolled: 1-line block ×3, first 2 shown]
	buffer_load_dword v0, off, s[88:91], 0 offset:428 ; 4-byte Folded Reload
	s_waitcnt vmcnt(0)
	buffer_load_dwordx4 v[30:33], v0, s[76:79], 0 offen offset:1536
	s_nop 0
	buffer_load_dword v0, off, s[88:91], 0 offset:424 ; 4-byte Folded Reload
	s_waitcnt vmcnt(0)
	buffer_load_dwordx4 v[34:37], v0, s[76:79], 0 offen offset:1536
	s_nop 0
	buffer_load_dword v0, off, s[88:91], 0 offset:436 ; 4-byte Folded Reload
	s_waitcnt vmcnt(0)
	buffer_load_dwordx4 v[174:177], v0, s[76:79], 0 offen offset:1536
	s_nop 0
	buffer_load_dword v0, off, s[88:91], 0 offset:432 ; 4-byte Folded Reload
	s_waitcnt vmcnt(0)
	buffer_load_dwordx4 v[130:133], v0, s[76:79], 0 offen offset:1536
	v_add_u32_e32 v0, v226, v255
	buffer_load_dwordx4 v[126:129], v0, s[76:79], 0 offen offset:1536
	s_nop 0
	buffer_load_dword v0, off, s[88:91], 0 offset:440 ; 4-byte Folded Reload
	v_add_u32_e32 v255, 0x400, v255
	s_waitcnt vmcnt(0)
	buffer_load_dwordx4 v[122:125], v0, s[76:79], 0 offen offset:1536
	v_add_u32_e32 v0, v226, v254
	buffer_load_dwordx4 v[82:85], v0, s[76:79], 0 offen offset:1536
	s_nop 0
	buffer_load_dword v0, off, s[88:91], 0 offset:444 ; 4-byte Folded Reload
	v_add_u32_e32 v254, 0x400, v254
	;; [unrolled: 7-line block ×3, first 2 shown]
	s_waitcnt vmcnt(0)
	buffer_load_dwordx4 v[58:61], v0, s[76:79], 0 offen offset:1536
	v_add_u32_e32 v0, v226, v244
	buffer_load_dwordx4 v[62:65], v0, s[76:79], 0 offen offset:1536
	v_add_u32_e32 v0, v226, v227
	;; [unrolled: 2-line block ×3, first 2 shown]
	buffer_load_dword v0, off, s[88:91], 0  ; 4-byte Folded Reload
	v_add_u32_e32 v244, 0x400, v244
	buffer_store_dword v227, off, s[88:91], 0 offset:228 ; 4-byte Folded Spill
	buffer_store_dword v244, off, s[88:91], 0 offset:232 ; 4-byte Folded Spill
	;; [unrolled: 1-line block ×5, first 2 shown]
	s_waitcnt vmcnt(5)
	v_add_u32_e32 v0, 0x400, v0
	buffer_store_dword v0, off, s[88:91], 0 ; 4-byte Folded Spill
	buffer_load_dword v0, off, s[88:91], 0 offset:4 ; 4-byte Folded Reload
	s_waitcnt vmcnt(0)
	v_add_u32_e32 v0, 0x400, v0
	buffer_store_dword v0, off, s[88:91], 0 offset:4 ; 4-byte Folded Spill
	buffer_load_dword v0, off, s[88:91], 0 offset:8 ; 4-byte Folded Reload
	s_waitcnt vmcnt(0)
	v_add_u32_e32 v0, 0x400, v0
	buffer_store_dword v0, off, s[88:91], 0 offset:8 ; 4-byte Folded Spill
	;; [unrolled: 4-line block ×26, first 2 shown]
	s_cbranch_scc1 .LBB1_12
; %bb.13:
	s_waitcnt lgkmcnt(0)
	; wave barrier
	buffer_load_dword v0, off, s[88:91], 0 offset:624 ; 4-byte Folded Reload
	s_lshl_b64 s[0:1], s[82:83], 1
	s_add_u32 s4, s80, s0
	s_mul_i32 s85, s85, s69
	s_mul_hi_u32 s2, s84, s69
	s_addc_u32 s5, s81, s1
	s_add_i32 s2, s2, s85
	s_waitcnt vmcnt(0)
	ds_read_b128 v[46:49], v0
	ds_read_b128 v[50:53], v0 offset:16384
	buffer_load_dword v0, off, s[88:91], 0 offset:108 ; 4-byte Folded Reload
	s_waitcnt vmcnt(0)
	ds_read_b128 v[54:57], v0
	ds_read_b128 v[58:61], v0 offset:16384
	buffer_load_dword v0, off, s[88:91], 0 offset:112 ; 4-byte Folded Reload
	;; [unrolled: 4-line block ×8, first 2 shown]
	s_waitcnt vmcnt(0)
	ds_read_b128 v[86:89], v0 offset:8192
	ds_read_b128 v[90:93], v0 offset:24576
	buffer_load_dword v0, off, s[88:91], 0 offset:160 ; 4-byte Folded Reload
	s_waitcnt vmcnt(0)
	ds_read_b128 v[94:97], v0 offset:8192
	ds_read_b128 v[98:101], v0 offset:24576
	buffer_load_dword v0, off, s[88:91], 0 offset:156 ; 4-byte Folded Reload
	;; [unrolled: 4-line block ×7, first 2 shown]
	s_waitcnt vmcnt(0)
	ds_read_b128 v[10:13], v0 offset:8192
	ds_read_b128 v[14:17], v0 offset:24576
	; sched_barrier mask(0x00000000)
	; wave barrier
	; sched_barrier mask(0x00000000)
	s_waitcnt lgkmcnt(14)
	v_mfma_f32_16x16x16f16 v[130:133], v[46:47], v[50:51], v[182:185]
	v_mfma_f32_16x16x16f16 v[130:133], v[48:49], v[52:53], v[130:133]
	; sched_barrier mask(0x00000000)
	s_setprio 1
	; sched_barrier mask(0x00000000)
	v_mfma_f32_16x16x16f16 v[134:137], v[46:47], v[90:91], v[162:165]
	v_mfma_f32_16x16x16f16 v[46:49], v[48:49], v[92:93], v[134:137]
	;; [unrolled: 1-line block ×7, first 2 shown]
	s_waitcnt lgkmcnt(12)
	v_mfma_f32_16x16x16f16 v[46:49], v[54:55], v[98:99], v[46:49]
	v_mfma_f32_16x16x16f16 v[90:93], v[56:57], v[60:61], v[90:93]
	v_mfma_f32_16x16x16f16 v[46:49], v[56:57], v[100:101], v[46:49]
	v_mfma_f32_16x16x16f16 v[50:53], v[94:95], v[58:59], v[50:53]
	v_mfma_f32_16x16x16f16 v[50:53], v[96:97], v[60:61], v[50:53]
	v_mfma_f32_16x16x16f16 v[54:57], v[94:95], v[98:99], v[86:89]
	v_mfma_f32_16x16x16f16 v[58:61], v[62:63], v[66:67], v[90:93]
	s_waitcnt lgkmcnt(10)
	v_mfma_f32_16x16x16f16 v[46:49], v[62:63], v[106:107], v[46:49]
	v_mfma_f32_16x16x16f16 v[54:57], v[96:97], v[100:101], v[54:57]
	v_mfma_f32_16x16x16f16 v[58:61], v[64:65], v[68:69], v[58:61]
	v_mfma_f32_16x16x16f16 v[46:49], v[64:65], v[108:109], v[46:49]
	v_mfma_f32_16x16x16f16 v[50:53], v[102:103], v[66:67], v[50:53]
	v_mfma_f32_16x16x16f16 v[50:53], v[104:105], v[68:69], v[50:53]
	v_mfma_f32_16x16x16f16 v[54:57], v[102:103], v[106:107], v[54:57]
	v_mfma_f32_16x16x16f16 v[58:61], v[70:71], v[74:75], v[58:61]
	s_waitcnt lgkmcnt(8)
	v_mfma_f32_16x16x16f16 v[46:49], v[70:71], v[114:115], v[46:49]
	;; [unrolled: 9-line block ×4, first 2 shown]
	v_mfma_f32_16x16x16f16 v[54:57], v[120:121], v[124:125], v[54:57]
	v_mfma_f32_16x16x16f16 v[58:61], v[40:41], v[36:37], v[58:61]
	;; [unrolled: 1-line block ×8, first 2 shown]
	s_waitcnt lgkmcnt(2)
	v_mfma_f32_16x16x16f16 v[38:41], v[22:23], v[30:31], v[38:41]
	v_mfma_f32_16x16x16f16 v[34:37], v[26:27], v[18:19], v[34:37]
	;; [unrolled: 1-line block ×8, first 2 shown]
	s_waitcnt lgkmcnt(0)
	v_mfma_f32_16x16x16f16 v[22:25], v[6:7], v[14:15], v[22:25]
	v_mfma_f32_16x16x16f16 v[0:3], v[10:11], v[2:3], v[18:21]
	;; [unrolled: 1-line block ×5, first 2 shown]
	; sched_barrier mask(0x00000000)
	s_waitcnt lgkmcnt(0)
	; wave barrier
	; sched_barrier mask(0x00000000)
	v_mfma_f32_16x16x16f16 v[18:21], v[10:11], v[14:15], v[26:29]
	v_mfma_f32_16x16x16f16 v[10:13], v[12:13], v[16:17], v[18:21]
	; sched_barrier mask(0x00000000)
	s_setprio 0
	; sched_barrier mask(0x00000000)
	buffer_load_dword v4, off, s[88:91], 0 offset:692 ; 4-byte Folded Reload
	buffer_load_dword v5, off, s[88:91], 0 offset:700 ; 4-byte Folded Reload
	s_nop 6
	v_cvt_f16_f32_e32 v20, v32
	v_cvt_f16_f32_e32 v21, v33
	s_add_i32 s2, s65, s2
	s_lshl_b32 s6, s2, 1
	s_mov_b32 s7, 0x20000
	v_cvt_f16_f32_e32 v0, v0
	s_lshl_b32 s8, s69, 4
	v_cvt_f16_f32_e32 v1, v1
	v_cvt_f16_f32_e32 v2, v2
	;; [unrolled: 1-line block ×3, first 2 shown]
	s_waitcnt vmcnt(1)
	v_lshrrev_b32_e32 v16, 2, v4
	s_waitcnt vmcnt(0)
	v_and_or_b32 v5, v4, 15, v5
	buffer_load_dword v4, off, s[88:91], 0 offset:696 ; 4-byte Folded Reload
	v_lshl_or_b32 v18, s33, 5, v16
	v_lshlrev_b32_e32 v19, 1, v5
	s_waitcnt lgkmcnt(0)
	; wave barrier
	s_waitcnt vmcnt(0)
	v_and_b32_e32 v17, 12, v4
	v_or_b32_e32 v4, s66, v17
	v_mad_u64_u32 v[14:15], s[0:1], v18, s69, v[4:5]
	v_cvt_f16_f32_e32 v15, v30
	v_cvt_f16_f32_e32 v5, v31
	ds_write_b16 v19, v15
	ds_write_b16 v19, v5 offset:32
	ds_write_b16 v19, v20 offset:64
	ds_write_b16 v19, v21 offset:96
	v_lshlrev_b32_e32 v5, 1, v17
	v_lshl_or_b32 v15, v16, 5, v5
	s_waitcnt lgkmcnt(0)
	; wave barrier
	ds_read_b64 v[16:17], v15
	v_cmp_gt_i32_e32 vcc, s65, v4
	v_cmp_gt_i32_e64 s[0:1], s64, v18
	v_bfrev_b32_e32 v20, 1
	s_and_b64 s[2:3], s[0:1], vcc
	v_cndmask_b32_e64 v5, v20, 0, s[2:3]
	v_lshl_add_u32 v5, v14, 1, v5
	s_waitcnt lgkmcnt(0)
	buffer_atomic_pk_add_f16 v16, v5, s[4:7], 0 offen
	buffer_atomic_pk_add_f16 v17, v5, s[4:7], 4 offen
	v_or_b32_e32 v16, 16, v4
	v_cvt_f16_f32_e32 v4, v6
	v_cvt_f16_f32_e32 v5, v7
	;; [unrolled: 1-line block ×4, first 2 shown]
	s_waitcnt lgkmcnt(0)
	; wave barrier
	ds_write_b16 v19, v4
	ds_write_b16 v19, v5 offset:32
	ds_write_b16 v19, v6 offset:64
	;; [unrolled: 1-line block ×3, first 2 shown]
	s_waitcnt lgkmcnt(0)
	; wave barrier
	ds_read_b64 v[4:5], v15
	v_cmp_gt_i32_e64 s[2:3], s65, v16
	s_and_b64 s[0:1], s[0:1], s[2:3]
	v_add_u32_e32 v17, 16, v14
	v_cndmask_b32_e64 v6, v20, 0, s[0:1]
	v_lshl_add_u32 v6, v17, 1, v6
	s_waitcnt lgkmcnt(0)
	buffer_atomic_pk_add_f16 v4, v6, s[4:7], 0 offen
	buffer_atomic_pk_add_f16 v5, v6, s[4:7], 4 offen
	v_cvt_f16_f32_e32 v4, v10
	v_cvt_f16_f32_e32 v5, v11
	;; [unrolled: 1-line block ×4, first 2 shown]
	v_or_b32_e32 v6, 16, v18
	s_waitcnt lgkmcnt(0)
	; wave barrier
	ds_write_b16 v19, v4
	ds_write_b16 v19, v5 offset:32
	ds_write_b16 v19, v8 offset:64
	;; [unrolled: 1-line block ×3, first 2 shown]
	s_waitcnt lgkmcnt(0)
	; wave barrier
	ds_read_b64 v[4:5], v15
	v_cmp_gt_i32_e64 s[0:1], s64, v6
	s_and_b64 s[2:3], s[0:1], s[2:3]
	v_add_u32_e32 v7, s8, v17
	v_cndmask_b32_e64 v6, v20, 0, s[2:3]
	v_lshl_add_u32 v6, v7, 1, v6
	s_waitcnt lgkmcnt(0)
	buffer_atomic_pk_add_f16 v4, v6, s[4:7], 0 offen
	buffer_atomic_pk_add_f16 v5, v6, s[4:7], 4 offen
	s_waitcnt lgkmcnt(0)
	; wave barrier
	ds_write_b16 v19, v0
	ds_write_b16 v19, v1 offset:32
	ds_write_b16 v19, v2 offset:64
	;; [unrolled: 1-line block ×3, first 2 shown]
	s_waitcnt lgkmcnt(0)
	; wave barrier
	ds_read_b64 v[0:1], v15
	s_and_b64 s[0:1], vcc, s[0:1]
	v_add_u32_e32 v2, s8, v14
	v_cndmask_b32_e64 v3, v20, 0, s[0:1]
	v_lshl_add_u32 v2, v2, 1, v3
	s_waitcnt lgkmcnt(0)
	buffer_atomic_pk_add_f16 v0, v2, s[4:7], 0 offen
	buffer_atomic_pk_add_f16 v1, v2, s[4:7], 4 offen
	s_endpgm
	.section	.rodata,"a",@progbits
	.p2align	6, 0x0
	.amdhsa_kernel _ZN2ck27kernel_gemm_xdl_cshuffle_v3INS_28GridwiseGemm_xdl_cshuffle_v3INS_13tensor_layout4gemm8RowMajorENS3_11ColumnMajorES4_DF16_DF16_fDF16_DF16_NS_16tensor_operation12element_wise11PassThroughES8_S8_LNS6_6device18GemmSpecializationE4ELi64ELi32ELi32ELi256ELi8ELi8ELi16ELi16ELi2ELi2ENS_8SequenceIJLi32ELi2ELi1EEEENSB_IJLi1ELi0ELi2EEEESD_Li2ELi8ELi8ELb0ELi0ESC_SD_SD_Li2ELi8ELi8ELb0ELi0ELi1ELi1ENSB_IJLi1ELi16ELi1ELi4EEEELi4ELNS_26BlockGemmPipelineSchedulerE1ELNS_24BlockGemmPipelineVersionE1EDF16_DF16_Lb0ELb0ELb0ELi0ELb0EEELb1ELNS_25InMemoryDataOperationEnumE1ELi2ELNS_10TailNumberE2EEEvNT_8ArgumentE
		.amdhsa_group_segment_fixed_size 32768
		.amdhsa_private_segment_fixed_size 708
		.amdhsa_kernarg_size 112
		.amdhsa_user_sgpr_count 6
		.amdhsa_user_sgpr_private_segment_buffer 1
		.amdhsa_user_sgpr_dispatch_ptr 0
		.amdhsa_user_sgpr_queue_ptr 0
		.amdhsa_user_sgpr_kernarg_segment_ptr 1
		.amdhsa_user_sgpr_dispatch_id 0
		.amdhsa_user_sgpr_flat_scratch_init 0
		.amdhsa_user_sgpr_kernarg_preload_length 0
		.amdhsa_user_sgpr_kernarg_preload_offset 0
		.amdhsa_user_sgpr_private_segment_size 0
		.amdhsa_uses_dynamic_stack 0
		.amdhsa_system_sgpr_private_segment_wavefront_offset 1
		.amdhsa_system_sgpr_workgroup_id_x 1
		.amdhsa_system_sgpr_workgroup_id_y 0
		.amdhsa_system_sgpr_workgroup_id_z 1
		.amdhsa_system_sgpr_workgroup_info 0
		.amdhsa_system_vgpr_workitem_id 0
		.amdhsa_next_free_vgpr 256
		.amdhsa_next_free_sgpr 92
		.amdhsa_accum_offset 256
		.amdhsa_reserve_vcc 1
		.amdhsa_reserve_flat_scratch 0
		.amdhsa_float_round_mode_32 0
		.amdhsa_float_round_mode_16_64 0
		.amdhsa_float_denorm_mode_32 3
		.amdhsa_float_denorm_mode_16_64 3
		.amdhsa_dx10_clamp 1
		.amdhsa_ieee_mode 1
		.amdhsa_fp16_overflow 0
		.amdhsa_tg_split 0
		.amdhsa_exception_fp_ieee_invalid_op 0
		.amdhsa_exception_fp_denorm_src 0
		.amdhsa_exception_fp_ieee_div_zero 0
		.amdhsa_exception_fp_ieee_overflow 0
		.amdhsa_exception_fp_ieee_underflow 0
		.amdhsa_exception_fp_ieee_inexact 0
		.amdhsa_exception_int_div_zero 0
	.end_amdhsa_kernel
	.section	.text._ZN2ck27kernel_gemm_xdl_cshuffle_v3INS_28GridwiseGemm_xdl_cshuffle_v3INS_13tensor_layout4gemm8RowMajorENS3_11ColumnMajorES4_DF16_DF16_fDF16_DF16_NS_16tensor_operation12element_wise11PassThroughES8_S8_LNS6_6device18GemmSpecializationE4ELi64ELi32ELi32ELi256ELi8ELi8ELi16ELi16ELi2ELi2ENS_8SequenceIJLi32ELi2ELi1EEEENSB_IJLi1ELi0ELi2EEEESD_Li2ELi8ELi8ELb0ELi0ESC_SD_SD_Li2ELi8ELi8ELb0ELi0ELi1ELi1ENSB_IJLi1ELi16ELi1ELi4EEEELi4ELNS_26BlockGemmPipelineSchedulerE1ELNS_24BlockGemmPipelineVersionE1EDF16_DF16_Lb0ELb0ELb0ELi0ELb0EEELb1ELNS_25InMemoryDataOperationEnumE1ELi2ELNS_10TailNumberE2EEEvNT_8ArgumentE,"axG",@progbits,_ZN2ck27kernel_gemm_xdl_cshuffle_v3INS_28GridwiseGemm_xdl_cshuffle_v3INS_13tensor_layout4gemm8RowMajorENS3_11ColumnMajorES4_DF16_DF16_fDF16_DF16_NS_16tensor_operation12element_wise11PassThroughES8_S8_LNS6_6device18GemmSpecializationE4ELi64ELi32ELi32ELi256ELi8ELi8ELi16ELi16ELi2ELi2ENS_8SequenceIJLi32ELi2ELi1EEEENSB_IJLi1ELi0ELi2EEEESD_Li2ELi8ELi8ELb0ELi0ESC_SD_SD_Li2ELi8ELi8ELb0ELi0ELi1ELi1ENSB_IJLi1ELi16ELi1ELi4EEEELi4ELNS_26BlockGemmPipelineSchedulerE1ELNS_24BlockGemmPipelineVersionE1EDF16_DF16_Lb0ELb0ELb0ELi0ELb0EEELb1ELNS_25InMemoryDataOperationEnumE1ELi2ELNS_10TailNumberE2EEEvNT_8ArgumentE,comdat
.Lfunc_end1:
	.size	_ZN2ck27kernel_gemm_xdl_cshuffle_v3INS_28GridwiseGemm_xdl_cshuffle_v3INS_13tensor_layout4gemm8RowMajorENS3_11ColumnMajorES4_DF16_DF16_fDF16_DF16_NS_16tensor_operation12element_wise11PassThroughES8_S8_LNS6_6device18GemmSpecializationE4ELi64ELi32ELi32ELi256ELi8ELi8ELi16ELi16ELi2ELi2ENS_8SequenceIJLi32ELi2ELi1EEEENSB_IJLi1ELi0ELi2EEEESD_Li2ELi8ELi8ELb0ELi0ESC_SD_SD_Li2ELi8ELi8ELb0ELi0ELi1ELi1ENSB_IJLi1ELi16ELi1ELi4EEEELi4ELNS_26BlockGemmPipelineSchedulerE1ELNS_24BlockGemmPipelineVersionE1EDF16_DF16_Lb0ELb0ELb0ELi0ELb0EEELb1ELNS_25InMemoryDataOperationEnumE1ELi2ELNS_10TailNumberE2EEEvNT_8ArgumentE, .Lfunc_end1-_ZN2ck27kernel_gemm_xdl_cshuffle_v3INS_28GridwiseGemm_xdl_cshuffle_v3INS_13tensor_layout4gemm8RowMajorENS3_11ColumnMajorES4_DF16_DF16_fDF16_DF16_NS_16tensor_operation12element_wise11PassThroughES8_S8_LNS6_6device18GemmSpecializationE4ELi64ELi32ELi32ELi256ELi8ELi8ELi16ELi16ELi2ELi2ENS_8SequenceIJLi32ELi2ELi1EEEENSB_IJLi1ELi0ELi2EEEESD_Li2ELi8ELi8ELb0ELi0ESC_SD_SD_Li2ELi8ELi8ELb0ELi0ELi1ELi1ENSB_IJLi1ELi16ELi1ELi4EEEELi4ELNS_26BlockGemmPipelineSchedulerE1ELNS_24BlockGemmPipelineVersionE1EDF16_DF16_Lb0ELb0ELb0ELi0ELb0EEELb1ELNS_25InMemoryDataOperationEnumE1ELi2ELNS_10TailNumberE2EEEvNT_8ArgumentE
                                        ; -- End function
	.section	.AMDGPU.csdata,"",@progbits
; Kernel info:
; codeLenInByte = 17620
; NumSgprs: 96
; NumVgprs: 256
; NumAgprs: 0
; TotalNumVgprs: 256
; ScratchSize: 708
; MemoryBound: 0
; FloatMode: 240
; IeeeMode: 1
; LDSByteSize: 32768 bytes/workgroup (compile time only)
; SGPRBlocks: 11
; VGPRBlocks: 31
; NumSGPRsForWavesPerEU: 96
; NumVGPRsForWavesPerEU: 256
; AccumOffset: 256
; Occupancy: 1
; WaveLimiterHint : 0
; COMPUTE_PGM_RSRC2:SCRATCH_EN: 1
; COMPUTE_PGM_RSRC2:USER_SGPR: 6
; COMPUTE_PGM_RSRC2:TRAP_HANDLER: 0
; COMPUTE_PGM_RSRC2:TGID_X_EN: 1
; COMPUTE_PGM_RSRC2:TGID_Y_EN: 0
; COMPUTE_PGM_RSRC2:TGID_Z_EN: 1
; COMPUTE_PGM_RSRC2:TIDIG_COMP_CNT: 0
; COMPUTE_PGM_RSRC3_GFX90A:ACCUM_OFFSET: 63
; COMPUTE_PGM_RSRC3_GFX90A:TG_SPLIT: 0
	.section	.text._ZN2ck27kernel_gemm_xdl_cshuffle_v3INS_28GridwiseGemm_xdl_cshuffle_v3INS_13tensor_layout4gemm8RowMajorENS3_11ColumnMajorES4_DF16_DF16_fDF16_DF16_NS_16tensor_operation12element_wise11PassThroughES8_S8_LNS6_6device18GemmSpecializationE4ELi64ELi32ELi32ELi256ELi8ELi8ELi16ELi16ELi2ELi2ENS_8SequenceIJLi32ELi2ELi1EEEENSB_IJLi1ELi0ELi2EEEESD_Li2ELi8ELi8ELb0ELi0ESC_SD_SD_Li2ELi8ELi8ELb0ELi0ELi1ELi1ENSB_IJLi1ELi16ELi1ELi4EEEELi4ELNS_26BlockGemmPipelineSchedulerE1ELNS_24BlockGemmPipelineVersionE1EDF16_DF16_Lb0ELb0ELb0ELi0ELb0EEELb1ELNS_25InMemoryDataOperationEnumE1ELi2ELNS_10TailNumberE10EEEvNT_8ArgumentE,"axG",@progbits,_ZN2ck27kernel_gemm_xdl_cshuffle_v3INS_28GridwiseGemm_xdl_cshuffle_v3INS_13tensor_layout4gemm8RowMajorENS3_11ColumnMajorES4_DF16_DF16_fDF16_DF16_NS_16tensor_operation12element_wise11PassThroughES8_S8_LNS6_6device18GemmSpecializationE4ELi64ELi32ELi32ELi256ELi8ELi8ELi16ELi16ELi2ELi2ENS_8SequenceIJLi32ELi2ELi1EEEENSB_IJLi1ELi0ELi2EEEESD_Li2ELi8ELi8ELb0ELi0ESC_SD_SD_Li2ELi8ELi8ELb0ELi0ELi1ELi1ENSB_IJLi1ELi16ELi1ELi4EEEELi4ELNS_26BlockGemmPipelineSchedulerE1ELNS_24BlockGemmPipelineVersionE1EDF16_DF16_Lb0ELb0ELb0ELi0ELb0EEELb1ELNS_25InMemoryDataOperationEnumE1ELi2ELNS_10TailNumberE10EEEvNT_8ArgumentE,comdat
	.protected	_ZN2ck27kernel_gemm_xdl_cshuffle_v3INS_28GridwiseGemm_xdl_cshuffle_v3INS_13tensor_layout4gemm8RowMajorENS3_11ColumnMajorES4_DF16_DF16_fDF16_DF16_NS_16tensor_operation12element_wise11PassThroughES8_S8_LNS6_6device18GemmSpecializationE4ELi64ELi32ELi32ELi256ELi8ELi8ELi16ELi16ELi2ELi2ENS_8SequenceIJLi32ELi2ELi1EEEENSB_IJLi1ELi0ELi2EEEESD_Li2ELi8ELi8ELb0ELi0ESC_SD_SD_Li2ELi8ELi8ELb0ELi0ELi1ELi1ENSB_IJLi1ELi16ELi1ELi4EEEELi4ELNS_26BlockGemmPipelineSchedulerE1ELNS_24BlockGemmPipelineVersionE1EDF16_DF16_Lb0ELb0ELb0ELi0ELb0EEELb1ELNS_25InMemoryDataOperationEnumE1ELi2ELNS_10TailNumberE10EEEvNT_8ArgumentE ; -- Begin function _ZN2ck27kernel_gemm_xdl_cshuffle_v3INS_28GridwiseGemm_xdl_cshuffle_v3INS_13tensor_layout4gemm8RowMajorENS3_11ColumnMajorES4_DF16_DF16_fDF16_DF16_NS_16tensor_operation12element_wise11PassThroughES8_S8_LNS6_6device18GemmSpecializationE4ELi64ELi32ELi32ELi256ELi8ELi8ELi16ELi16ELi2ELi2ENS_8SequenceIJLi32ELi2ELi1EEEENSB_IJLi1ELi0ELi2EEEESD_Li2ELi8ELi8ELb0ELi0ESC_SD_SD_Li2ELi8ELi8ELb0ELi0ELi1ELi1ENSB_IJLi1ELi16ELi1ELi4EEEELi4ELNS_26BlockGemmPipelineSchedulerE1ELNS_24BlockGemmPipelineVersionE1EDF16_DF16_Lb0ELb0ELb0ELi0ELb0EEELb1ELNS_25InMemoryDataOperationEnumE1ELi2ELNS_10TailNumberE10EEEvNT_8ArgumentE
	.globl	_ZN2ck27kernel_gemm_xdl_cshuffle_v3INS_28GridwiseGemm_xdl_cshuffle_v3INS_13tensor_layout4gemm8RowMajorENS3_11ColumnMajorES4_DF16_DF16_fDF16_DF16_NS_16tensor_operation12element_wise11PassThroughES8_S8_LNS6_6device18GemmSpecializationE4ELi64ELi32ELi32ELi256ELi8ELi8ELi16ELi16ELi2ELi2ENS_8SequenceIJLi32ELi2ELi1EEEENSB_IJLi1ELi0ELi2EEEESD_Li2ELi8ELi8ELb0ELi0ESC_SD_SD_Li2ELi8ELi8ELb0ELi0ELi1ELi1ENSB_IJLi1ELi16ELi1ELi4EEEELi4ELNS_26BlockGemmPipelineSchedulerE1ELNS_24BlockGemmPipelineVersionE1EDF16_DF16_Lb0ELb0ELb0ELi0ELb0EEELb1ELNS_25InMemoryDataOperationEnumE1ELi2ELNS_10TailNumberE10EEEvNT_8ArgumentE
	.p2align	8
	.type	_ZN2ck27kernel_gemm_xdl_cshuffle_v3INS_28GridwiseGemm_xdl_cshuffle_v3INS_13tensor_layout4gemm8RowMajorENS3_11ColumnMajorES4_DF16_DF16_fDF16_DF16_NS_16tensor_operation12element_wise11PassThroughES8_S8_LNS6_6device18GemmSpecializationE4ELi64ELi32ELi32ELi256ELi8ELi8ELi16ELi16ELi2ELi2ENS_8SequenceIJLi32ELi2ELi1EEEENSB_IJLi1ELi0ELi2EEEESD_Li2ELi8ELi8ELb0ELi0ESC_SD_SD_Li2ELi8ELi8ELb0ELi0ELi1ELi1ENSB_IJLi1ELi16ELi1ELi4EEEELi4ELNS_26BlockGemmPipelineSchedulerE1ELNS_24BlockGemmPipelineVersionE1EDF16_DF16_Lb0ELb0ELb0ELi0ELb0EEELb1ELNS_25InMemoryDataOperationEnumE1ELi2ELNS_10TailNumberE10EEEvNT_8ArgumentE,@function
_ZN2ck27kernel_gemm_xdl_cshuffle_v3INS_28GridwiseGemm_xdl_cshuffle_v3INS_13tensor_layout4gemm8RowMajorENS3_11ColumnMajorES4_DF16_DF16_fDF16_DF16_NS_16tensor_operation12element_wise11PassThroughES8_S8_LNS6_6device18GemmSpecializationE4ELi64ELi32ELi32ELi256ELi8ELi8ELi16ELi16ELi2ELi2ENS_8SequenceIJLi32ELi2ELi1EEEENSB_IJLi1ELi0ELi2EEEESD_Li2ELi8ELi8ELb0ELi0ESC_SD_SD_Li2ELi8ELi8ELb0ELi0ELi1ELi1ENSB_IJLi1ELi16ELi1ELi4EEEELi4ELNS_26BlockGemmPipelineSchedulerE1ELNS_24BlockGemmPipelineVersionE1EDF16_DF16_Lb0ELb0ELb0ELi0ELb0EEELb1ELNS_25InMemoryDataOperationEnumE1ELi2ELNS_10TailNumberE10EEEvNT_8ArgumentE: ; @_ZN2ck27kernel_gemm_xdl_cshuffle_v3INS_28GridwiseGemm_xdl_cshuffle_v3INS_13tensor_layout4gemm8RowMajorENS3_11ColumnMajorES4_DF16_DF16_fDF16_DF16_NS_16tensor_operation12element_wise11PassThroughES8_S8_LNS6_6device18GemmSpecializationE4ELi64ELi32ELi32ELi256ELi8ELi8ELi16ELi16ELi2ELi2ENS_8SequenceIJLi32ELi2ELi1EEEENSB_IJLi1ELi0ELi2EEEESD_Li2ELi8ELi8ELb0ELi0ESC_SD_SD_Li2ELi8ELi8ELb0ELi0ELi1ELi1ENSB_IJLi1ELi16ELi1ELi4EEEELi4ELNS_26BlockGemmPipelineSchedulerE1ELNS_24BlockGemmPipelineVersionE1EDF16_DF16_Lb0ELb0ELb0ELi0ELb0EEELb1ELNS_25InMemoryDataOperationEnumE1ELi2ELNS_10TailNumberE10EEEvNT_8ArgumentE
; %bb.0:
	s_mov_b64 s[90:91], s[2:3]
	s_mov_b64 s[88:89], s[0:1]
	s_add_u32 s88, s88, s8
	s_load_dwordx8 s[64:71], s[4:5], 0x10
	s_load_dword s10, s[4:5], 0x68
	s_load_dwordx2 s[80:81], s[4:5], 0x60
	s_load_dwordx4 s[0:3], s[4:5], 0x50
	s_addc_u32 s89, s89, 0
	s_waitcnt lgkmcnt(0)
	s_cmp_gt_i32 s70, 1
	s_cselect_b64 s[8:9], -1, 0
	s_bitcmp1_b32 s10, 0
	s_cselect_b64 s[10:11], -1, 0
	s_and_b64 s[8:9], s[8:9], s[10:11]
	s_andn2_b64 vcc, exec, s[8:9]
	s_mov_b64 s[82:83], 0
	s_cbranch_vccnz .LBB2_2
; %bb.1:
	s_mul_i32 s8, s64, s7
	s_mul_i32 s82, s8, s65
	s_ashr_i32 s83, s82, 31
.LBB2_2:
	s_load_dword s9, s[4:5], 0x34
	s_load_dword s8, s[4:5], 0x3c
	s_add_i32 s4, s64, -1
	s_cmp_lt_u32 s4, 32
	s_mov_b32 s71, 0
	s_cbranch_scc1 .LBB2_6
; %bb.3:
	s_add_i32 s4, s65, -1
	s_cmp_lt_u32 s4, 32
	s_mov_b32 s4, 0
	s_cbranch_scc1 .LBB2_10
; %bb.4:
	s_add_i32 s4, s64, 31
	s_ashr_i32 s5, s4, 31
	s_lshr_b32 s5, s5, 27
	s_add_i32 s4, s4, s5
	s_ashr_i32 s11, s4, 5
	s_add_i32 s4, s65, 31
	s_ashr_i32 s5, s4, 31
	s_lshr_b32 s5, s5, 27
	s_add_i32 s4, s4, s5
	s_ashr_i32 s10, s4, 5
	s_mul_i32 s4, s10, s11
	s_add_i32 s5, s4, 7
	s_ashr_i32 s12, s5, 31
	s_lshr_b32 s12, s12, 29
	s_add_i32 s5, s5, s12
	s_ashr_i32 s12, s5, 3
	s_and_b32 s5, s5, -8
	s_sub_i32 s13, s4, s5
	s_ashr_i32 s4, s6, 31
	s_lshr_b32 s4, s4, 29
	s_add_i32 s15, s6, s4
	s_and_b32 s4, s15, -8
	s_add_i32 s13, s13, 8
	s_sub_i32 s14, s6, s4
	s_cmp_gt_i32 s14, s13
	s_cbranch_scc1 .LBB2_7
; %bb.5:
	s_mul_i32 s6, s12, s14
	s_ashr_i32 s4, s15, 3
	s_cbranch_execz .LBB2_8
	s_branch .LBB2_9
.LBB2_6:
	s_mov_b32 s33, 0
	s_branch .LBB2_11
.LBB2_7:
                                        ; implicit-def: $sgpr6
	s_ashr_i32 s4, s15, 3
.LBB2_8:
	s_add_i32 s5, s12, -1
	s_mul_i32 s5, s5, s14
	s_add_i32 s6, s13, s5
.LBB2_9:
	s_abs_i32 s5, s10
	v_cvt_f32_u32_e32 v1, s5
	s_sub_i32 s13, 0, s5
	s_add_i32 s4, s6, s4
	s_abs_i32 s12, s4
	v_rcp_iflag_f32_e32 v1, v1
	s_xor_b32 s6, s4, s10
	s_ashr_i32 s6, s6, 31
	v_mul_f32_e32 v1, 0x4f7ffffe, v1
	v_cvt_u32_f32_e32 v1, v1
	v_readfirstlane_b32 s14, v1
	s_mul_i32 s13, s13, s14
	s_mul_hi_u32 s13, s14, s13
	s_add_i32 s14, s14, s13
	s_mul_hi_u32 s13, s12, s14
	s_mul_i32 s14, s13, s5
	s_sub_i32 s12, s12, s14
	s_add_i32 s15, s13, 1
	s_sub_i32 s14, s12, s5
	s_cmp_ge_u32 s12, s5
	s_cselect_b32 s13, s15, s13
	s_cselect_b32 s12, s14, s12
	s_add_i32 s14, s13, 1
	s_cmp_ge_u32 s12, s5
	s_cselect_b32 s5, s14, s13
	s_xor_b32 s5, s5, s6
	s_lshr_b32 s12, s11, 30
	s_sub_i32 s5, s5, s6
	s_add_i32 s12, s11, s12
	s_mul_i32 s6, s5, s10
	s_sub_i32 s4, s4, s6
	s_and_b32 s6, s12, -4
	s_sub_i32 s11, s11, s6
	s_cmp_ge_i32 s5, s6
	s_cselect_b32 s6, s11, 4
	s_abs_i32 s12, s6
	v_cvt_f32_u32_e32 v1, s12
	s_ashr_i32 s11, s5, 31
	s_lshr_b32 s11, s11, 30
	s_add_i32 s11, s5, s11
	v_rcp_iflag_f32_e32 v1, v1
	s_and_b32 s11, s11, -4
	s_sub_i32 s11, s5, s11
	s_sub_i32 s14, 0, s12
	v_mul_f32_e32 v1, 0x4f7ffffe, v1
	v_cvt_u32_f32_e32 v1, v1
	s_mul_i32 s10, s11, s10
	s_add_i32 s10, s10, s4
	s_abs_i32 s13, s10
	v_readfirstlane_b32 s15, v1
	s_mul_i32 s14, s14, s15
	s_mul_hi_u32 s14, s15, s14
	s_add_i32 s15, s15, s14
	s_mul_hi_u32 s14, s13, s15
	s_mul_i32 s15, s14, s12
	s_xor_b32 s4, s10, s6
	s_sub_i32 s13, s13, s15
	s_ashr_i32 s4, s4, 31
	s_add_i32 s15, s14, 1
	s_sub_i32 s16, s13, s12
	s_cmp_ge_u32 s13, s12
	s_cselect_b32 s14, s15, s14
	s_cselect_b32 s13, s16, s13
	s_add_i32 s15, s14, 1
	s_cmp_ge_u32 s13, s12
	s_cselect_b32 s12, s15, s14
	s_xor_b32 s12, s12, s4
	s_sub_i32 s4, s12, s4
	s_mul_i32 s6, s4, s6
	s_sub_i32 s6, s10, s6
	s_add_i32 s6, s6, s5
	s_sub_i32 s6, s6, s11
.LBB2_10:
	s_mov_b32 s33, s6
	s_mov_b32 s6, s4
.LBB2_11:
	s_waitcnt lgkmcnt(0)
	s_mul_i32 s4, s9, s7
	s_ashr_i32 s5, s4, 31
	s_lshl_b64 s[4:5], s[4:5], 1
	s_add_u32 s72, s0, s4
	s_addc_u32 s73, s1, s5
	s_add_u32 s76, s2, s4
	s_addc_u32 s77, s3, s5
	s_add_u32 s84, 0, 0
	s_addc_u32 s85, s64, -1
	s_add_u32 s1, 0, 0
	s_addc_u32 s1, s65, 0x7fffffff
	s_add_i32 s2, s70, -1
	s_mul_i32 s3, s2, s9
	s_sub_i32 s3, s66, s3
	s_cmp_lt_u32 s7, s2
	v_lshrrev_b32_e32 v149, 1, v0
	s_cselect_b32 s2, s9, s3
	s_lshl_b32 s3, s33, 5
	v_and_b32_e32 v172, 31, v0
	v_and_b32_e32 v1, 16, v149
	v_add_u32_e32 v167, s3, v1
	v_xor_b32_e32 v137, v1, v172
	v_lshlrev_b32_e32 v4, 8, v1
	s_mul_i32 s0, s85, s67
	v_lshlrev_b32_e32 v2, 3, v172
	v_mul_lo_u32 v130, v167, s67
	v_lshl_or_b32 v168, v137, 3, v4
	v_lshlrev_b32_e32 v4, 2, v0
	v_add_u32_e32 v3, v130, v2
	buffer_store_dword v4, off, s[88:91], 0 offset:772 ; 4-byte Folded Spill
	v_and_b32_e32 v4, 0xc0, v4
	s_add_i32 s0, s2, s0
	buffer_store_dword v4, off, s[88:91], 0 offset:776 ; 4-byte Folded Spill
	v_lshrrev_b32_e32 v144, 3, v4
	s_lshl_b32 s74, s0, 1
	s_mov_b32 s75, 0x20000
	v_lshlrev_b32_e32 v4, 1, v3
	v_add_u32_e32 v3, s67, v3
	v_lshlrev_b32_e32 v5, 1, v3
	buffer_load_dwordx4 v[66:69], v4, s[72:75], 0 offen
	buffer_load_dwordx4 v[70:73], v5, s[72:75], 0 offen
	v_add_u32_e32 v3, s67, v3
	v_lshlrev_b32_e32 v4, 1, v3
	v_add_u32_e32 v3, s67, v3
	v_lshlrev_b32_e32 v5, 1, v3
	buffer_load_dwordx4 v[74:77], v4, s[72:75], 0 offen
	buffer_load_dwordx4 v[78:81], v5, s[72:75], 0 offen
	v_add_u32_e32 v3, s67, v3
	;; [unrolled: 6-line block ×6, first 2 shown]
	v_lshlrev_b32_e32 v4, 1, v3
	v_add_u32_e32 v3, s67, v3
	s_lshl_b32 s66, s6, 5
	v_lshlrev_b32_e32 v5, 1, v3
	buffer_load_dwordx4 v[114:117], v4, s[72:75], 0 offen
	buffer_load_dwordx4 v[118:121], v5, s[72:75], 0 offen
	v_add_u32_e32 v169, s66, v1
	v_add_u32_e32 v3, s67, v3
	v_mul_lo_u32 v132, v169, s68
	v_add_u32_e32 v170, s67, v3
	s_mul_i32 s1, s1, s68
	v_add_u32_e32 v2, v132, v2
	v_lshlrev_b32_e32 v4, 1, v3
	v_lshlrev_b32_e32 v3, 1, v170
	buffer_load_dwordx4 v[122:125], v4, s[72:75], 0 offen
	buffer_load_dwordx4 v[126:129], v3, s[72:75], 0 offen
	s_add_i32 s2, s2, s1
	v_lshlrev_b32_e32 v3, 1, v2
	v_add_u32_e32 v2, s68, v2
	s_lshl_b32 s78, s2, 1
	s_mov_b32 s79, s75
	v_lshlrev_b32_e32 v4, 1, v2
	v_add_u32_e32 v2, s68, v2
	buffer_load_dwordx4 v[62:65], v3, s[76:79], 0 offen
	buffer_load_dwordx4 v[54:57], v4, s[76:79], 0 offen
	v_lshlrev_b32_e32 v3, 1, v2
	v_add_u32_e32 v2, s68, v2
	v_lshlrev_b32_e32 v4, 1, v2
	v_add_u32_e32 v2, s68, v2
	buffer_load_dwordx4 v[58:61], v3, s[76:79], 0 offen
	buffer_load_dwordx4 v[46:49], v4, s[76:79], 0 offen
	v_lshlrev_b32_e32 v3, 1, v2
	v_add_u32_e32 v2, s68, v2
	;; [unrolled: 6-line block ×6, first 2 shown]
	v_lshlrev_b32_e32 v4, 1, v2
	v_add_u32_e32 v2, s68, v2
	v_add_u32_e32 v171, s68, v2
	v_cmp_gt_i32_e64 s[4:5], s64, v167
	v_add_u32_e32 v131, 1, v167
	v_add_u32_e32 v133, 2, v167
	;; [unrolled: 1-line block ×15, first 2 shown]
	buffer_load_dwordx4 v[18:21], v3, s[76:79], 0 offen
	buffer_load_dwordx4 v[6:9], v4, s[76:79], 0 offen
	v_lshlrev_b32_e32 v3, 1, v2
	v_lshlrev_b32_e32 v2, 1, v171
	s_waitcnt vmcnt(29)
	v_cndmask_b32_e64 v69, 0, v69, s[4:5]
	v_cndmask_b32_e64 v68, 0, v68, s[4:5]
	v_cndmask_b32_e64 v67, 0, v67, s[4:5]
	v_cndmask_b32_e64 v66, 0, v66, s[4:5]
	v_lshlrev_b32_e32 v167, 1, v168
	buffer_load_dwordx4 v[10:13], v3, s[76:79], 0 offen
	s_nop 0
	buffer_load_dwordx4 v[2:5], v2, s[76:79], 0 offen
	ds_write_b128 v167, v[66:69]
	v_or_b32_e32 v66, 1, v1
	v_xor_b32_e32 v66, v66, v172
	v_sub_u32_e32 v67, v66, v137
	v_or_b32_e32 v69, 2, v1
	v_cmp_gt_i32_e32 vcc, s64, v131
	v_lshlrev_b32_e32 v173, 3, v67
	v_lshlrev_b32_e32 v67, 4, v67
	v_xor_b32_e32 v69, v69, v172
	s_waitcnt vmcnt(30)
	v_cndmask_b32_e32 v73, 0, v73, vcc
	v_cndmask_b32_e32 v72, 0, v72, vcc
	;; [unrolled: 1-line block ×4, first 2 shown]
	v_add_u32_e32 v68, v167, v67
	v_sub_u32_e32 v66, v69, v66
	ds_write_b128 v68, v[70:73] offset:512
	v_lshlrev_b32_e32 v70, 3, v66
	buffer_store_dword v70, off, s[88:91], 0 offset:704 ; 4-byte Folded Spill
	v_add_u32_e32 v70, 0x100, v70
	v_add_u32_e32 v71, 0x100, v173
	buffer_store_dword v173, off, s[88:91], 0 offset:700 ; 4-byte Folded Spill
	buffer_store_dword v70, off, s[88:91], 0 offset:648 ; 4-byte Folded Spill
	;; [unrolled: 1-line block ×3, first 2 shown]
	v_add3_u32 v70, v71, v168, v70
	v_or_b32_e32 v71, 3, v1
	s_mul_i32 s0, s67, -15
	v_xor_b32_e32 v71, v71, v172
	s_addk_i32 s0, 0x100
	v_sub_u32_e32 v69, v71, v69
	v_add_u32_e32 v170, s0, v170
	s_mul_i32 s0, s68, -15
	v_lshlrev_b32_e32 v72, 3, v69
	s_addk_i32 s0, 0x100
	buffer_store_dword v72, off, s[88:91], 0 offset:708 ; 4-byte Folded Spill
	v_add_u32_e32 v73, 0x100, v72
	v_or_b32_e32 v72, 4, v1
	s_ashr_i32 s3, s8, 31
	v_add_u32_e32 v171, s0, v171
	v_cmp_gt_i32_e64 s[0:1], s64, v133
	v_lshlrev_b32_e32 v66, 4, v66
	s_movk_i32 s70, 0x200
	v_xor_b32_e32 v72, v72, v172
	s_lshr_b32 s3, s3, 27
	s_waitcnt vmcnt(34)
	v_cndmask_b32_e64 v77, 0, v77, s[0:1]
	v_cndmask_b32_e64 v76, 0, v76, s[0:1]
	;; [unrolled: 1-line block ×4, first 2 shown]
	v_add3_u32 v68, v68, s70, v66
	v_sub_u32_e32 v71, v72, v71
	s_add_i32 s8, s8, s3
	v_cmp_gt_i32_e64 s[2:3], s64, v134
	ds_write_b128 v68, v[74:77] offset:512
	v_lshlrev_b32_e32 v69, 4, v69
	v_lshlrev_b32_e32 v74, 3, v71
	s_waitcnt vmcnt(33)
	v_cndmask_b32_e64 v81, 0, v81, s[2:3]
	v_cndmask_b32_e64 v80, 0, v80, s[2:3]
	;; [unrolled: 1-line block ×4, first 2 shown]
	v_add3_u32 v68, v68, s70, v69
	buffer_store_dword v74, off, s[88:91], 0 offset:712 ; 4-byte Folded Spill
	v_add_u32_e32 v74, 0x100, v74
	ds_write_b128 v68, v[78:81] offset:512
	buffer_store_dword v73, off, s[88:91], 0 offset:656 ; 4-byte Folded Spill
	buffer_store_dword v74, off, s[88:91], 0 offset:660 ; 4-byte Folded Spill
	v_add3_u32 v70, v70, v73, v74
	v_or_b32_e32 v73, 5, v1
	v_xor_b32_e32 v73, v73, v172
	v_sub_u32_e32 v72, v73, v72
	v_lshlrev_b32_e32 v74, 3, v72
	buffer_store_dword v74, off, s[88:91], 0 offset:716 ; 4-byte Folded Spill
	v_add_u32_e32 v75, 0x100, v74
	v_or_b32_e32 v74, 6, v1
	v_xor_b32_e32 v74, v74, v172
	v_cmp_gt_i32_e64 s[6:7], s64, v135
	v_lshlrev_b32_e32 v71, 4, v71
	v_sub_u32_e32 v73, v74, v73
	s_ashr_i32 s87, s8, 5
	s_waitcnt vmcnt(36)
	v_cndmask_b32_e64 v85, 0, v85, s[6:7]
	v_cndmask_b32_e64 v84, 0, v84, s[6:7]
	v_cndmask_b32_e64 v83, 0, v83, s[6:7]
	v_cndmask_b32_e64 v82, 0, v82, s[6:7]
	v_cmp_gt_i32_e64 s[8:9], s64, v136
	v_add3_u32 v68, v68, s70, v71
	v_lshlrev_b32_e32 v72, 4, v72
	v_lshlrev_b32_e32 v76, 3, v73
	s_waitcnt vmcnt(35)
	v_cndmask_b32_e64 v89, 0, v89, s[8:9]
	v_cndmask_b32_e64 v88, 0, v88, s[8:9]
	v_cndmask_b32_e64 v87, 0, v87, s[8:9]
	v_cndmask_b32_e64 v86, 0, v86, s[8:9]
	ds_write_b128 v68, v[82:85] offset:512
	v_add3_u32 v68, v68, s70, v72
	buffer_store_dword v76, off, s[88:91], 0 offset:720 ; 4-byte Folded Spill
	v_add_u32_e32 v76, 0x100, v76
	ds_write_b128 v68, v[86:89] offset:512
	buffer_store_dword v75, off, s[88:91], 0 offset:664 ; 4-byte Folded Spill
	buffer_store_dword v76, off, s[88:91], 0 offset:668 ; 4-byte Folded Spill
	v_add3_u32 v70, v70, v75, v76
	v_or_b32_e32 v75, 7, v1
	v_xor_b32_e32 v75, v75, v172
	v_sub_u32_e32 v74, v75, v74
	v_lshlrev_b32_e32 v76, 3, v74
	buffer_store_dword v76, off, s[88:91], 0 offset:724 ; 4-byte Folded Spill
	v_add_u32_e32 v77, 0x100, v76
	v_or_b32_e32 v76, 8, v1
	v_xor_b32_e32 v76, v76, v172
	v_cmp_gt_i32_e64 s[10:11], s64, v138
	v_lshlrev_b32_e32 v73, 4, v73
	v_sub_u32_e32 v75, v76, v75
	s_waitcnt vmcnt(38)
	v_cndmask_b32_e64 v93, 0, v93, s[10:11]
	v_cndmask_b32_e64 v92, 0, v92, s[10:11]
	v_cndmask_b32_e64 v91, 0, v91, s[10:11]
	v_cndmask_b32_e64 v90, 0, v90, s[10:11]
	v_cmp_gt_i32_e64 s[12:13], s64, v139
	v_add3_u32 v68, v68, s70, v73
	v_lshlrev_b32_e32 v74, 4, v74
	v_lshlrev_b32_e32 v78, 3, v75
	s_waitcnt vmcnt(37)
	v_cndmask_b32_e64 v97, 0, v97, s[12:13]
	v_cndmask_b32_e64 v96, 0, v96, s[12:13]
	v_cndmask_b32_e64 v95, 0, v95, s[12:13]
	v_cndmask_b32_e64 v94, 0, v94, s[12:13]
	ds_write_b128 v68, v[90:93] offset:512
	v_add3_u32 v68, v68, s70, v74
	buffer_store_dword v78, off, s[88:91], 0 offset:728 ; 4-byte Folded Spill
	v_add_u32_e32 v78, 0x100, v78
	ds_write_b128 v68, v[94:97] offset:512
	buffer_store_dword v77, off, s[88:91], 0 offset:672 ; 4-byte Folded Spill
	buffer_store_dword v78, off, s[88:91], 0 offset:676 ; 4-byte Folded Spill
	v_add3_u32 v70, v70, v77, v78
	v_or_b32_e32 v77, 9, v1
	v_xor_b32_e32 v77, v77, v172
	v_sub_u32_e32 v76, v77, v76
	v_lshlrev_b32_e32 v78, 3, v76
	buffer_store_dword v78, off, s[88:91], 0 offset:732 ; 4-byte Folded Spill
	v_add_u32_e32 v79, 0x100, v78
	v_or_b32_e32 v78, 10, v1
	v_xor_b32_e32 v78, v78, v172
	v_cmp_gt_i32_e64 s[14:15], s64, v141
	v_lshlrev_b32_e32 v75, 4, v75
	v_sub_u32_e32 v77, v78, v77
	;; [unrolled: 33-line block ×4, first 2 shown]
	s_waitcnt vmcnt(44)
	v_cndmask_b32_e64 v117, 0, v117, s[22:23]
	v_cndmask_b32_e64 v116, 0, v116, s[22:23]
	;; [unrolled: 1-line block ×4, first 2 shown]
	v_cmp_gt_i32_e64 s[24:25], s64, v148
	v_add3_u32 v68, v68, s70, v79
	v_lshlrev_b32_e32 v80, 4, v80
	v_lshlrev_b32_e32 v82, 3, v81
	s_waitcnt vmcnt(43)
	v_cndmask_b32_e64 v121, 0, v121, s[24:25]
	v_cndmask_b32_e64 v120, 0, v120, s[24:25]
	;; [unrolled: 1-line block ×4, first 2 shown]
	ds_write_b128 v68, v[114:117] offset:512
	v_add3_u32 v68, v68, s70, v80
	buffer_store_dword v82, off, s[88:91], 0 offset:752 ; 4-byte Folded Spill
	v_add_u32_e32 v82, 0x100, v82
	ds_write_b128 v68, v[118:121] offset:512
	buffer_store_dword v83, off, s[88:91], 0 offset:684 ; 4-byte Folded Spill
	buffer_store_dword v82, off, s[88:91], 0 offset:688 ; 4-byte Folded Spill
	v_add3_u32 v70, v70, v83, v82
	v_or_b32_e32 v82, 15, v149
	v_xor_b32_e32 v82, v82, v0
	v_and_b32_e32 v82, 31, v82
	v_cmp_gt_i32_e64 s[26:27], s64, v150
	v_lshlrev_b32_e32 v81, 4, v81
	v_sub_u32_e32 v83, v82, v168
	s_waitcnt vmcnt(45)
	v_cndmask_b32_e64 v125, 0, v125, s[26:27]
	v_cndmask_b32_e64 v124, 0, v124, s[26:27]
	;; [unrolled: 1-line block ×4, first 2 shown]
	v_cmp_gt_i32_e64 s[28:29], s64, v151
	v_add3_u32 v68, v68, s70, v81
	v_lshl_add_u32 v70, v83, 3, v70
	v_lshlrev_b32_e32 v83, 4, v83
	s_waitcnt vmcnt(44)
	v_cndmask_b32_e64 v129, 0, v129, s[28:29]
	v_cndmask_b32_e64 v128, 0, v128, s[28:29]
	;; [unrolled: 1-line block ×4, first 2 shown]
	ds_write_b128 v68, v[122:125] offset:512
	v_add3_u32 v68, v68, s70, v83
	ds_write_b128 v68, v[126:129] offset:512
	v_sub_u32_e32 v68, v137, v82
	v_add_u32_e32 v152, 1, v169
	v_lshlrev_b32_e32 v68, 3, v68
	s_movk_i32 s30, 0xf200
	v_cmp_gt_i32_e64 s[38:39], s65, v169
	v_add_u32_e32 v153, 2, v169
	v_add3_u32 v149, v70, v68, s30
	s_waitcnt vmcnt(43)
	v_cndmask_b32_e64 v65, 0, v65, s[38:39]
	v_cndmask_b32_e64 v64, 0, v64, s[38:39]
	;; [unrolled: 1-line block ×4, first 2 shown]
	v_cmp_gt_i32_e64 s[30:31], s65, v152
	v_or_b32_e32 v68, 0x4000, v167
	v_add_u32_e32 v154, 3, v169
	s_waitcnt vmcnt(42)
	v_cndmask_b32_e64 v57, 0, v57, s[30:31]
	v_cndmask_b32_e64 v56, 0, v56, s[30:31]
	;; [unrolled: 1-line block ×4, first 2 shown]
	v_cmp_gt_i32_e64 s[34:35], s65, v153
	ds_write_b128 v167, v[62:65] offset:16384
	v_add_u32_e32 v62, v68, v67
	v_add_u32_e32 v155, 4, v169
	s_waitcnt vmcnt(41)
	v_cndmask_b32_e64 v61, 0, v61, s[34:35]
	v_cndmask_b32_e64 v60, 0, v60, s[34:35]
	v_cndmask_b32_e64 v59, 0, v59, s[34:35]
	v_cndmask_b32_e64 v58, 0, v58, s[34:35]
	v_cmp_gt_i32_e64 s[36:37], s65, v154
	ds_write_b128 v62, v[54:57] offset:512
	v_add3_u32 v54, v62, s70, v66
	v_add_u32_e32 v156, 5, v169
	s_waitcnt vmcnt(40)
	v_cndmask_b32_e64 v49, 0, v49, s[36:37]
	v_cndmask_b32_e64 v48, 0, v48, s[36:37]
	v_cndmask_b32_e64 v47, 0, v47, s[36:37]
	v_cndmask_b32_e64 v46, 0, v46, s[36:37]
	v_cmp_gt_i32_e64 s[40:41], s65, v155
	ds_write_b128 v54, v[58:61] offset:512
	v_add3_u32 v54, v54, s70, v69
	;; [unrolled: 9-line block ×12, first 2 shown]
	s_waitcnt vmcnt(29)
	v_cndmask_b32_e64 v13, 0, v13, s[60:61]
	v_cndmask_b32_e64 v12, 0, v12, s[60:61]
	;; [unrolled: 1-line block ×4, first 2 shown]
	v_cmp_gt_i32_e64 s[62:63], s65, v166
	ds_write_b128 v14, v[6:9] offset:512
	v_add3_u32 v6, v14, s70, v81
	s_waitcnt vmcnt(28)
	v_cndmask_b32_e64 v5, 0, v5, s[62:63]
	v_cndmask_b32_e64 v4, 0, v4, s[62:63]
	;; [unrolled: 1-line block ×4, first 2 shown]
	ds_write_b128 v6, v[10:13] offset:512
	v_add3_u32 v6, v6, s70, v83
	buffer_store_dword v0, off, s[88:91], 0 offset:768 ; 4-byte Folded Spill
	ds_write_b128 v6, v[2:5] offset:512
	v_lshlrev_b32_e32 v2, 1, v170
	v_add_u32_e32 v3, s67, v170
	v_lshlrev_b32_e32 v4, 1, v3
	buffer_load_dwordx4 v[126:129], v2, s[72:75], 0 offen
	buffer_load_dwordx4 v[122:125], v4, s[72:75], 0 offen
	v_add_u32_e32 v2, s67, v3
	v_lshlrev_b32_e32 v3, 1, v2
	v_add_u32_e32 v2, s67, v2
	v_lshlrev_b32_e32 v4, 1, v2
	v_add_u32_e32 v2, s67, v2
	buffer_load_dwordx4 v[118:121], v3, s[72:75], 0 offen
	buffer_load_dwordx4 v[114:117], v4, s[72:75], 0 offen
	v_lshlrev_b32_e32 v3, 1, v2
	v_add_u32_e32 v2, s67, v2
	v_lshlrev_b32_e32 v4, 1, v2
	v_add_u32_e32 v2, s67, v2
	buffer_load_dwordx4 v[110:113], v3, s[72:75], 0 offen
	buffer_load_dwordx4 v[106:109], v4, s[72:75], 0 offen
	;; [unrolled: 6-line block ×6, first 2 shown]
	v_lshlrev_b32_e32 v3, 1, v2
	v_add_lshl_u32 v2, v2, s67, 1
	buffer_load_dwordx4 v[70:73], v3, s[72:75], 0 offen
	buffer_load_dwordx4 v[66:69], v2, s[72:75], 0 offen
	v_lshlrev_b32_e32 v2, 1, v171
	v_add_u32_e32 v3, s68, v171
	v_lshlrev_b32_e32 v4, 1, v3
	buffer_load_dwordx4 v[62:65], v2, s[76:79], 0 offen
	buffer_load_dwordx4 v[58:61], v4, s[76:79], 0 offen
	v_add_u32_e32 v2, s68, v3
	v_lshlrev_b32_e32 v3, 1, v2
	v_add_u32_e32 v2, s68, v2
	v_lshlrev_b32_e32 v4, 1, v2
	v_add_u32_e32 v2, s68, v2
	buffer_load_dwordx4 v[54:57], v3, s[76:79], 0 offen
	buffer_load_dwordx4 v[50:53], v4, s[76:79], 0 offen
	v_lshlrev_b32_e32 v3, 1, v2
	v_add_u32_e32 v2, s68, v2
	v_lshlrev_b32_e32 v4, 1, v2
	v_add_u32_e32 v2, s68, v2
	buffer_load_dwordx4 v[34:37], v3, s[76:79], 0 offen
	buffer_load_dwordx4 v[42:45], v4, s[76:79], 0 offen
	v_lshlrev_b32_e32 v3, 1, v2
	v_add_u32_e32 v2, s68, v2
	v_lshlrev_b32_e32 v4, 1, v2
	buffer_load_dwordx4 v[38:41], v3, s[76:79], 0 offen
	s_nop 0
	buffer_load_dwordx4 v[4:7], v4, s[76:79], 0 offen
	v_add_u32_e32 v2, s68, v2
	s_waitcnt vmcnt(0)
	buffer_store_dword v4, off, s[88:91], 0 offset:280 ; 4-byte Folded Spill
	s_nop 0
	buffer_store_dword v5, off, s[88:91], 0 offset:284 ; 4-byte Folded Spill
	buffer_store_dword v6, off, s[88:91], 0 offset:288 ; 4-byte Folded Spill
	buffer_store_dword v7, off, s[88:91], 0 offset:292 ; 4-byte Folded Spill
	v_lshlrev_b32_e32 v3, 1, v2
	buffer_load_dwordx4 v[6:9], v3, s[76:79], 0 offen
	v_add_u32_e32 v2, s68, v2
	v_lshlrev_b32_e32 v4, 1, v2
	s_waitcnt vmcnt(0)
	buffer_store_dword v6, off, s[88:91], 0 offset:264 ; 4-byte Folded Spill
	s_nop 0
	buffer_store_dword v7, off, s[88:91], 0 offset:268 ; 4-byte Folded Spill
	buffer_store_dword v8, off, s[88:91], 0 offset:272 ; 4-byte Folded Spill
	buffer_store_dword v9, off, s[88:91], 0 offset:276 ; 4-byte Folded Spill
	buffer_load_dwordx4 v[4:7], v4, s[76:79], 0 offen
	v_add_u32_e32 v2, s68, v2
	s_waitcnt vmcnt(0)
	buffer_store_dword v4, off, s[88:91], 0 offset:248 ; 4-byte Folded Spill
	s_nop 0
	buffer_store_dword v5, off, s[88:91], 0 offset:252 ; 4-byte Folded Spill
	buffer_store_dword v6, off, s[88:91], 0 offset:256 ; 4-byte Folded Spill
	buffer_store_dword v7, off, s[88:91], 0 offset:260 ; 4-byte Folded Spill
	v_lshlrev_b32_e32 v3, 1, v2
	buffer_load_dwordx4 v[6:9], v3, s[76:79], 0 offen
	v_add_u32_e32 v2, s68, v2
	v_lshlrev_b32_e32 v4, 1, v2
	s_waitcnt vmcnt(0)
	buffer_store_dword v6, off, s[88:91], 0 offset:232 ; 4-byte Folded Spill
	s_nop 0
	buffer_store_dword v7, off, s[88:91], 0 offset:236 ; 4-byte Folded Spill
	buffer_store_dword v8, off, s[88:91], 0 offset:240 ; 4-byte Folded Spill
	buffer_store_dword v9, off, s[88:91], 0 offset:244 ; 4-byte Folded Spill
	;; [unrolled: 18-line block ×3, first 2 shown]
	buffer_load_dwordx4 v[4:7], v4, s[76:79], 0 offen
	v_add_u32_e32 v2, s68, v2
	s_waitcnt vmcnt(0)
	buffer_store_dword v4, off, s[88:91], 0 offset:184 ; 4-byte Folded Spill
	s_nop 0
	buffer_store_dword v5, off, s[88:91], 0 offset:188 ; 4-byte Folded Spill
	buffer_store_dword v6, off, s[88:91], 0 offset:192 ; 4-byte Folded Spill
	;; [unrolled: 1-line block ×3, first 2 shown]
	v_lshlrev_b32_e32 v3, 1, v2
	buffer_load_dwordx4 v[4:7], v3, s[76:79], 0 offen
	v_add_lshl_u32 v2, v2, s68, 1
	s_waitcnt vmcnt(0)
	buffer_store_dword v4, off, s[88:91], 0 offset:168 ; 4-byte Folded Spill
	s_nop 0
	buffer_store_dword v5, off, s[88:91], 0 offset:172 ; 4-byte Folded Spill
	buffer_store_dword v6, off, s[88:91], 0 offset:176 ; 4-byte Folded Spill
	;; [unrolled: 1-line block ×3, first 2 shown]
	buffer_load_dwordx4 v[2:5], v2, s[76:79], 0 offen
	s_waitcnt vmcnt(0)
	buffer_store_dword v2, off, s[88:91], 0 offset:152 ; 4-byte Folded Spill
	s_nop 0
	buffer_store_dword v3, off, s[88:91], 0 offset:156 ; 4-byte Folded Spill
	buffer_store_dword v4, off, s[88:91], 0 offset:160 ; 4-byte Folded Spill
	;; [unrolled: 1-line block ×3, first 2 shown]
	v_and_b32_e32 v143, 15, v0
	v_or_b32_e32 v3, 1, v144
	v_lshlrev_b32_e32 v2, 9, v143
	v_xor_b32_e32 v4, v3, v143
	v_lshl_or_b32 v0, v4, 4, v2
	v_or_b32_e32 v4, 2, v144
	v_xor_b32_e32 v5, v4, v143
	buffer_store_dword v0, off, s[88:91], 0 offset:104 ; 4-byte Folded Spill
	v_lshl_or_b32 v0, v5, 4, v2
	v_or_b32_e32 v5, 3, v144
	v_xor_b32_e32 v6, v5, v143
	buffer_store_dword v0, off, s[88:91], 0 offset:108 ; 4-byte Folded Spill
	;; [unrolled: 4-line block ×5, first 2 shown]
	v_lshl_or_b32 v0, v9, 4, v2
	v_or_b32_e32 v9, 7, v144
	v_xor_b32_e32 v140, v144, v143
	v_xor_b32_e32 v10, v9, v143
	v_or_b32_e32 v1, 15, v1
	v_lshl_or_b32 v11, v140, 4, v2
	buffer_store_dword v0, off, s[88:91], 0 offset:640 ; 4-byte Folded Spill
	v_lshl_or_b32 v0, v10, 4, v2
	v_or_b32_e32 v2, 16, v143
	v_xor_b32_e32 v1, v1, v172
	v_xor_b32_sdwa v10, v144, v2 dst_sel:DWORD dst_unused:UNUSED_PAD src0_sel:DWORD src1_sel:WORD_0
	v_xor_b32_sdwa v3, v3, v2 dst_sel:DWORD dst_unused:UNUSED_PAD src0_sel:DWORD src1_sel:WORD_0
	;; [unrolled: 1-line block ×8, first 2 shown]
	v_sub_u32_e32 v9, v1, v168
	buffer_store_dword v0, off, s[88:91], 0 offset:644 ; 4-byte Folded Spill
	v_lshlrev_b32_e32 v0, 3, v9
	buffer_store_dword v0, off, s[88:91], 0 offset:756 ; 4-byte Folded Spill
	v_add_u32_e32 v0, 0x100, v0
	v_sub_u32_e32 v1, v137, v1
	v_mov_b32_e32 v9, 0xfffff100
	buffer_store_dword v0, off, s[88:91], 0 offset:692 ; 4-byte Folded Spill
	v_lshl_add_u32 v0, v1, 3, v9
	buffer_store_dword v0, off, s[88:91], 0 offset:696 ; 4-byte Folded Spill
	v_mul_lo_u32 v0, s68, v166
	v_lshlrev_b32_e32 v0, 1, v0
	buffer_store_dword v0, off, s[88:91], 0 offset:344 ; 4-byte Folded Spill
	v_mul_lo_u32 v0, s68, v165
	v_lshlrev_b32_e32 v230, 1, v0
	v_mul_lo_u32 v0, s68, v164
	v_lshlrev_b32_e32 v0, 1, v0
	buffer_store_dword v0, off, s[88:91], 0 offset:348 ; 4-byte Folded Spill
	v_mul_lo_u32 v0, s68, v163
	v_lshlrev_b32_e32 v0, 1, v0
	buffer_store_dword v0, off, s[88:91], 0 offset:352 ; 4-byte Folded Spill
	;; [unrolled: 3-line block ×4, first 2 shown]
	v_mul_lo_u32 v0, s68, v160
	v_lshlrev_b32_e32 v208, 1, v0
	v_mul_lo_u32 v0, s68, v159
	v_lshlrev_b32_e32 v209, 1, v0
	;; [unrolled: 2-line block ×3, first 2 shown]
	buffer_store_dword v0, off, s[88:91], 0 ; 4-byte Folded Spill
	v_mul_lo_u32 v0, s68, v157
	v_lshlrev_b32_e32 v0, 1, v0
	buffer_store_dword v0, off, s[88:91], 0 offset:4 ; 4-byte Folded Spill
	v_mul_lo_u32 v0, s68, v156
	v_lshlrev_b32_e32 v0, 1, v0
	buffer_store_dword v0, off, s[88:91], 0 offset:364 ; 4-byte Folded Spill
	;; [unrolled: 3-line block ×6, first 2 shown]
	v_lshlrev_b32_e32 v0, 1, v132
	buffer_store_dword v0, off, s[88:91], 0 offset:376 ; 4-byte Folded Spill
	v_mul_lo_u32 v0, s67, v151
	v_lshlrev_b32_e32 v0, 1, v0
	buffer_store_dword v0, off, s[88:91], 0 offset:40 ; 4-byte Folded Spill
	v_mul_lo_u32 v0, s67, v150
	;; [unrolled: 3-line block ×14, first 2 shown]
	v_lshlrev_b32_e32 v0, 1, v0
	v_sub_u32_e32 v10, v10, v140
	buffer_store_dword v0, off, s[88:91], 0 offset:96 ; 4-byte Folded Spill
	v_mul_lo_u32 v0, s67, v131
	v_lshlrev_b32_e32 v10, 4, v10
	v_sub_u32_e32 v3, v3, v140
	v_lshlrev_b32_e32 v0, 1, v0
	v_lshlrev_b32_e32 v3, 4, v3
	v_sub_u32_e32 v4, v4, v140
	buffer_store_dword v0, off, s[88:91], 0 offset:100 ; 4-byte Folded Spill
	v_add_u32_e32 v0, v11, v10
	v_lshlrev_b32_e32 v4, 4, v4
	v_sub_u32_e32 v5, v5, v140
	buffer_store_dword v0, off, s[88:91], 0 offset:144 ; 4-byte Folded Spill
	v_add_u32_e32 v0, v11, v3
	;; [unrolled: 4-line block ×6, first 2 shown]
	v_lshlrev_b32_e32 v2, 4, v2
	buffer_store_dword v0, off, s[88:91], 0 offset:124 ; 4-byte Folded Spill
	v_add_u32_e32 v0, v11, v8
	v_mov_b32_e32 v12, 0
	buffer_store_dword v0, off, s[88:91], 0 offset:120 ; 4-byte Folded Spill
	buffer_store_dword v11, off, s[88:91], 0 offset:148 ; 4-byte Folded Spill
	v_add_u32_e32 v0, v11, v2
	buffer_store_dword v0, off, s[88:91], 0 offset:116 ; 4-byte Folded Spill
	v_mov_b32_e32 v13, v12
	v_mov_b32_e32 v14, v12
	;; [unrolled: 1-line block ×7, first 2 shown]
	buffer_store_dword v0, off, s[88:91], 0 offset:296 ; 4-byte Folded Spill
	s_nop 0
	buffer_store_dword v1, off, s[88:91], 0 offset:300 ; 4-byte Folded Spill
	buffer_store_dword v2, off, s[88:91], 0 offset:304 ; 4-byte Folded Spill
	;; [unrolled: 1-line block ×4, first 2 shown]
	s_nop 0
	buffer_store_dword v1, off, s[88:91], 0 offset:316 ; 4-byte Folded Spill
	buffer_store_dword v2, off, s[88:91], 0 offset:320 ; 4-byte Folded Spill
	;; [unrolled: 1-line block ×3, first 2 shown]
	v_mov_b32_e32 v28, v12
	v_mov_b32_e32 v29, v12
	;; [unrolled: 1-line block ×3, first 2 shown]
	buffer_store_dword v12, off, s[88:91], 0 offset:328 ; 4-byte Folded Spill
	s_nop 0
	buffer_store_dword v13, off, s[88:91], 0 offset:332 ; 4-byte Folded Spill
	buffer_store_dword v14, off, s[88:91], 0 offset:336 ; 4-byte Folded Spill
	;; [unrolled: 1-line block ×3, first 2 shown]
	s_movk_i32 s86, 0x4000
	s_add_i32 s87, s87, -2
	v_lshlrev_b32_e32 v231, 4, v172
	v_lshlrev_b32_e32 v203, 1, v130
	v_mov_b32_e32 v202, v149
	v_mov_b32_e32 v31, v12
.LBB2_12:                               ; =>This Inner Loop Header: Depth=1
	buffer_store_dword v209, off, s[88:91], 0 offset:396 ; 4-byte Folded Spill
	buffer_store_dword v208, off, s[88:91], 0 offset:392 ; 4-byte Folded Spill
	;; [unrolled: 1-line block ×3, first 2 shown]
	s_waitcnt lgkmcnt(0)
	; wave barrier
	buffer_load_dword v0, off, s[88:91], 0 offset:148 ; 4-byte Folded Reload
	buffer_load_dword v245, off, s[88:91], 0 offset:636 ; 4-byte Folded Reload
	;; [unrolled: 1-line block ×3, first 2 shown]
	v_mov_b32_e32 v32, v149
	buffer_load_dword v247, off, s[88:91], 0 offset:632 ; 4-byte Folded Reload
	buffer_load_dword v246, off, s[88:91], 0 offset:640 ; 4-byte Folded Reload
	s_waitcnt vmcnt(4)
	ds_read_b128 v[210:213], v0
	v_mov_b32_e32 v3, v0
	s_waitcnt vmcnt(2)
	ds_read_b128 v[150:153], v244
	buffer_load_dword v0, off, s[88:91], 0 offset:104 ; 4-byte Folded Reload
	ds_read_b128 v[194:197], v245
	s_waitcnt vmcnt(2)
	ds_read_b128 v[222:225], v247
	s_waitcnt vmcnt(1)
	;; [unrolled: 2-line block ×3, first 2 shown]
	ds_read_b128 v[214:217], v0
	v_mov_b32_e32 v2, v0
	buffer_load_dword v0, off, s[88:91], 0 offset:108 ; 4-byte Folded Reload
	s_waitcnt vmcnt(0)
	ds_read_b128 v[218:221], v0
	v_mov_b32_e32 v1, v0
	buffer_load_dword v0, off, s[88:91], 0 offset:112 ; 4-byte Folded Reload
	s_waitcnt vmcnt(0)
	;; [unrolled: 4-line block ×3, first 2 shown]
	ds_read_b128 v[226:229], v0 offset:8192
	v_mov_b32_e32 v5, v0
	buffer_load_dword v0, off, s[88:91], 0 offset:140 ; 4-byte Folded Reload
	s_waitcnt vmcnt(0)
	ds_read_b128 v[204:207], v0 offset:8192
	v_mov_b32_e32 v9, v0
	buffer_load_dword v0, off, s[88:91], 0 offset:136 ; 4-byte Folded Reload
	s_waitcnt vmcnt(0)
	;; [unrolled: 4-line block ×7, first 2 shown]
	ds_read_b128 v[146:149], v0 offset:8192
	v_mov_b32_e32 v33, v0
	ds_read_b128 v[232:235], v3 offset:16384
	ds_read_b128 v[236:239], v2 offset:16384
	;; [unrolled: 1-line block ×16, first 2 shown]
	; sched_barrier mask(0x00000000)
	; wave barrier
	; sched_barrier mask(0x00000000)
	s_waitcnt lgkmcnt(14)
	v_mfma_f32_16x16x16f16 v[142:145], v[210:211], v[232:233], v[28:31]
	v_mfma_f32_16x16x16f16 v[142:145], v[212:213], v[234:235], v[142:145]
	; sched_barrier mask(0x00000000)
	s_setprio 1
	; sched_barrier mask(0x00000000)
	buffer_load_dword v46, off, s[88:91], 0 offset:312 ; 4-byte Folded Reload
	buffer_load_dword v47, off, s[88:91], 0 offset:316 ; 4-byte Folded Reload
	;; [unrolled: 1-line block ×4, first 2 shown]
	s_waitcnt vmcnt(0) lgkmcnt(7)
	v_mfma_f32_16x16x16f16 v[138:141], v[210:211], v[4:5], v[46:49]
	s_nop 6
	buffer_load_dword v46, off, s[88:91], 0 offset:296 ; 4-byte Folded Reload
	buffer_load_dword v47, off, s[88:91], 0 offset:300 ; 4-byte Folded Reload
	;; [unrolled: 1-line block ×8, first 2 shown]
	v_mfma_f32_16x16x16f16 v[138:141], v[212:213], v[6:7], v[138:141]
	s_waitcnt lgkmcnt(6)
	v_mfma_f32_16x16x16f16 v[138:141], v[214:215], v[8:9], v[138:141]
	v_mfma_f32_16x16x16f16 v[138:141], v[216:217], v[10:11], v[138:141]
	s_waitcnt vmcnt(4)
	v_mfma_f32_16x16x16f16 v[134:137], v[226:227], v[232:233], v[46:49]
	v_mfma_f32_16x16x16f16 v[134:137], v[228:229], v[234:235], v[134:137]
	s_waitcnt vmcnt(0)
	v_mfma_f32_16x16x16f16 v[130:133], v[226:227], v[4:5], v[28:31]
	v_mfma_f32_16x16x16f16 v[4:7], v[228:229], v[6:7], v[130:133]
	;; [unrolled: 1-line block ×9, first 2 shown]
	s_waitcnt lgkmcnt(5)
	v_mfma_f32_16x16x16f16 v[130:133], v[218:219], v[12:13], v[138:141]
	v_mfma_f32_16x16x16f16 v[134:137], v[248:249], v[240:241], v[134:137]
	;; [unrolled: 1-line block ×8, first 2 shown]
	s_waitcnt lgkmcnt(4)
	v_mfma_f32_16x16x16f16 v[12:15], v[222:223], v[16:17], v[130:133]
	v_mfma_f32_16x16x16f16 v[130:133], v[252:253], v[198:199], v[134:137]
	;; [unrolled: 1-line block ×10, first 2 shown]
	s_waitcnt lgkmcnt(3)
	v_mfma_f32_16x16x16f16 v[12:15], v[194:195], v[20:21], v[12:15]
	v_mfma_f32_16x16x16f16 v[0:3], v[192:193], v[2:3], v[16:19]
	v_mfma_f32_16x16x16f16 v[12:15], v[196:197], v[22:23], v[12:15]
	v_mfma_f32_16x16x16f16 v[8:11], v[178:179], v[186:187], v[8:11]
	v_mfma_f32_16x16x16f16 v[0:3], v[174:175], v[186:187], v[0:3]
	v_mfma_f32_16x16x16f16 v[4:7], v[190:191], v[20:21], v[4:7]
	v_mfma_f32_16x16x16f16 v[8:11], v[180:181], v[188:189], v[8:11]
	s_waitcnt lgkmcnt(2)
	v_mfma_f32_16x16x16f16 v[12:15], v[178:179], v[24:25], v[12:15]
	v_mfma_f32_16x16x16f16 v[0:3], v[176:177], v[188:189], v[0:3]
	v_mfma_f32_16x16x16f16 v[4:7], v[192:193], v[22:23], v[4:7]
	v_mfma_f32_16x16x16f16 v[12:15], v[180:181], v[26:27], v[12:15]
	v_mfma_f32_16x16x16f16 v[8:11], v[166:167], v[170:171], v[8:11]
	v_mfma_f32_16x16x16f16 v[0:3], v[158:159], v[170:171], v[0:3]
	v_mfma_f32_16x16x16f16 v[4:7], v[174:175], v[24:25], v[4:7]
	v_mfma_f32_16x16x16f16 v[8:11], v[168:169], v[172:173], v[8:11]
	s_waitcnt lgkmcnt(1)
	v_mfma_f32_16x16x16f16 v[12:15], v[166:167], v[182:183], v[12:15]
	;; [unrolled: 9-line block ×3, first 2 shown]
	v_mfma_f32_16x16x16f16 v[0:3], v[148:149], v[156:157], v[0:3]
	s_nop 7
	s_nop 2
	buffer_store_dword v0, off, s[88:91], 0 offset:296 ; 4-byte Folded Spill
	s_nop 0
	buffer_store_dword v1, off, s[88:91], 0 offset:300 ; 4-byte Folded Spill
	buffer_store_dword v2, off, s[88:91], 0 offset:304 ; 4-byte Folded Spill
	;; [unrolled: 1-line block ×3, first 2 shown]
	v_mfma_f32_16x16x16f16 v[4:7], v[160:161], v[184:185], v[4:7]
	v_mfma_f32_16x16x16f16 v[214:217], v[152:153], v[164:165], v[8:11]
	; sched_barrier mask(0x00000000)
	s_waitcnt lgkmcnt(0)
	; wave barrier
	; sched_barrier mask(0x00000000)
	v_mfma_f32_16x16x16f16 v[0:3], v[146:147], v[162:163], v[4:7]
	v_mfma_f32_16x16x16f16 v[0:3], v[148:149], v[164:165], v[0:3]
	s_nop 7
	s_nop 2
	buffer_store_dword v0, off, s[88:91], 0 offset:312 ; 4-byte Folded Spill
	s_nop 0
	buffer_store_dword v1, off, s[88:91], 0 offset:316 ; 4-byte Folded Spill
	buffer_store_dword v2, off, s[88:91], 0 offset:320 ; 4-byte Folded Spill
	;; [unrolled: 1-line block ×3, first 2 shown]
	; sched_barrier mask(0x00000000)
	s_setprio 0
	; sched_barrier mask(0x00000000)
	v_cndmask_b32_e64 v3, 0, v129, s[4:5]
	v_cndmask_b32_e64 v2, 0, v128, s[4:5]
	;; [unrolled: 1-line block ×4, first 2 shown]
	v_lshlrev_b32_e32 v28, 1, v32
	ds_write_b128 v28, v[0:3]
	buffer_load_dword v1, off, s[88:91], 0 offset:700 ; 4-byte Folded Reload
	buffer_load_dword v218, off, s[88:91], 0 offset:696 ; 4-byte Folded Reload
	v_cndmask_b32_e64 v24, 0, v102, s[10:11]
	v_cndmask_b32_e32 v7, 0, v125, vcc
	v_cndmask_b32_e32 v6, 0, v124, vcc
	;; [unrolled: 1-line block ×4, first 2 shown]
	v_cndmask_b32_e64 v20, 0, v106, s[8:9]
	v_cndmask_b32_e64 v11, 0, v121, s[0:1]
	;; [unrolled: 1-line block ×55, first 2 shown]
	buffer_store_dword v32, off, s[88:91], 0 offset:764 ; 4-byte Folded Spill
	s_waitcnt vmcnt(2)
	v_lshlrev_b32_e32 v2, 1, v1
	v_add_u32_e32 v0, v28, v2
	v_mov_b32_e32 v102, v2
	buffer_load_dword v2, off, s[88:91], 0 offset:704 ; 4-byte Folded Reload
	ds_write_b128 v0, v[4:7] offset:512
	v_add_u32_e32 v190, 0x100, v1
	v_mov_b32_e32 v103, v190
	buffer_store_dword v102, off, s[88:91], 0 offset:600 ; 4-byte Folded Spill
	v_cndmask_b32_e64 v7, 0, v61, s[30:31]
	v_cndmask_b32_e64 v6, 0, v60, s[30:31]
	;; [unrolled: 1-line block ×4, first 2 shown]
	s_waitcnt vmcnt(1)
	v_add_u32_e32 v3, 0x100, v2
	v_lshlrev_b32_e32 v2, 1, v2
	v_add3_u32 v0, v0, s70, v2
	v_mov_b32_e32 v106, v2
	buffer_load_dword v2, off, s[88:91], 0 offset:708 ; 4-byte Folded Reload
	v_add3_u32 v1, v32, v190, v3
	v_mov_b32_e32 v104, v3
	ds_write_b128 v0, v[8:11] offset:512
	buffer_store_dword v106, off, s[88:91], 0 offset:596 ; 4-byte Folded Spill
	v_cndmask_b32_e64 v11, 0, v57, s[34:35]
	v_cndmask_b32_e64 v10, 0, v56, s[34:35]
	;; [unrolled: 1-line block ×4, first 2 shown]
	s_waitcnt vmcnt(1)
	v_lshlrev_b32_e32 v3, 1, v2
	v_add3_u32 v0, v0, s70, v3
	v_mov_b32_e32 v105, v3
	v_add_u32_e32 v3, 0x100, v2
	buffer_load_dword v2, off, s[88:91], 0 offset:712 ; 4-byte Folded Reload
	ds_write_b128 v0, v[12:15] offset:512
	v_mov_b32_e32 v107, v3
	buffer_store_dword v105, off, s[88:91], 0 offset:592 ; 4-byte Folded Spill
	v_cndmask_b32_e64 v15, 0, v53, s[36:37]
	v_cndmask_b32_e64 v14, 0, v52, s[36:37]
	;; [unrolled: 1-line block ×4, first 2 shown]
	s_waitcnt vmcnt(1)
	v_add_u32_e32 v190, 0x100, v2
	v_lshlrev_b32_e32 v2, 1, v2
	v_add3_u32 v0, v0, s70, v2
	v_mov_b32_e32 v110, v2
	buffer_load_dword v2, off, s[88:91], 0 offset:716 ; 4-byte Folded Reload
	v_add3_u32 v1, v1, v3, v190
	ds_write_b128 v0, v[16:19] offset:512
	v_mov_b32_e32 v108, v190
	buffer_store_dword v110, off, s[88:91], 0 offset:588 ; 4-byte Folded Spill
	v_cndmask_b32_e64 v19, 0, v37, s[40:41]
	v_cndmask_b32_e64 v18, 0, v36, s[40:41]
	;; [unrolled: 1-line block ×4, first 2 shown]
	s_waitcnt vmcnt(1)
	v_lshlrev_b32_e32 v3, 1, v2
	v_add3_u32 v0, v0, s70, v3
	v_mov_b32_e32 v109, v3
	v_add_u32_e32 v3, 0x100, v2
	buffer_load_dword v2, off, s[88:91], 0 offset:720 ; 4-byte Folded Reload
	ds_write_b128 v0, v[20:23] offset:512
	v_mov_b32_e32 v111, v3
	buffer_store_dword v109, off, s[88:91], 0 offset:584 ; 4-byte Folded Spill
	v_cndmask_b32_e64 v23, 0, v45, s[42:43]
	v_cndmask_b32_e64 v22, 0, v44, s[42:43]
	;; [unrolled: 1-line block ×4, first 2 shown]
	s_waitcnt vmcnt(1)
	v_add_u32_e32 v190, 0x100, v2
	v_lshlrev_b32_e32 v2, 1, v2
	v_add3_u32 v0, v0, s70, v2
	v_mov_b32_e32 v113, v2
	buffer_load_dword v2, off, s[88:91], 0 offset:724 ; 4-byte Folded Reload
	v_add3_u32 v1, v1, v3, v190
	ds_write_b128 v0, v[24:27] offset:512
	v_mov_b32_e32 v112, v190
	buffer_store_dword v113, off, s[88:91], 0 offset:612 ; 4-byte Folded Spill
	v_cndmask_b32_e64 v27, 0, v41, s[44:45]
	v_cndmask_b32_e64 v26, 0, v40, s[44:45]
	;; [unrolled: 1-line block ×4, first 2 shown]
	s_waitcnt vmcnt(1)
	v_lshlrev_b32_e32 v3, 1, v2
	v_add3_u32 v0, v0, s70, v3
	v_mov_b32_e32 v114, v3
	v_add_u32_e32 v3, 0x100, v2
	buffer_load_dword v2, off, s[88:91], 0 offset:728 ; 4-byte Folded Reload
	ds_write_b128 v0, v[98:101] offset:512
	v_mov_b32_e32 v98, v3
	buffer_store_dword v114, off, s[88:91], 0 offset:616 ; 4-byte Folded Spill
	s_waitcnt vmcnt(1)
	v_add_u32_e32 v190, 0x100, v2
	v_lshlrev_b32_e32 v255, 1, v2
	buffer_load_dword v2, off, s[88:91], 0 offset:732 ; 4-byte Folded Reload
	v_add3_u32 v1, v1, v3, v190
	v_add3_u32 v0, v0, s70, v255
	ds_write_b128 v0, v[94:97] offset:512
	v_mov_b32_e32 v99, v190
	s_waitcnt vmcnt(0)
	v_lshlrev_b32_e32 v3, 1, v2
	v_add3_u32 v0, v0, s70, v3
	v_mov_b32_e32 v94, v3
	v_add_u32_e32 v3, 0x100, v2
	buffer_load_dword v2, off, s[88:91], 0 offset:736 ; 4-byte Folded Reload
	ds_write_b128 v0, v[90:93] offset:512
	v_mov_b32_e32 v90, v3
	buffer_store_dword v94, off, s[88:91], 0 offset:564 ; 4-byte Folded Spill
	s_waitcnt vmcnt(1)
	v_add_u32_e32 v190, 0x100, v2
	v_lshlrev_b32_e32 v2, 1, v2
	v_add3_u32 v0, v0, s70, v2
	v_mov_b32_e32 v92, v2
	buffer_load_dword v2, off, s[88:91], 0 offset:740 ; 4-byte Folded Reload
	v_add3_u32 v1, v1, v3, v190
	ds_write_b128 v0, v[86:89] offset:512
	v_mov_b32_e32 v91, v190
	buffer_store_dword v92, off, s[88:91], 0 offset:560 ; 4-byte Folded Spill
	s_waitcnt vmcnt(1)
	v_lshlrev_b32_e32 v3, 1, v2
	v_add3_u32 v0, v0, s70, v3
	v_mov_b32_e32 v86, v3
	v_add_u32_e32 v3, 0x100, v2
	buffer_load_dword v2, off, s[88:91], 0 offset:744 ; 4-byte Folded Reload
	ds_write_b128 v0, v[82:85] offset:512
	v_mov_b32_e32 v82, v3
	buffer_store_dword v86, off, s[88:91], 0 offset:604 ; 4-byte Folded Spill
	s_waitcnt vmcnt(1)
	v_add_u32_e32 v190, 0x100, v2
	v_lshlrev_b32_e32 v2, 1, v2
	v_add3_u32 v0, v0, s70, v2
	v_mov_b32_e32 v84, v2
	buffer_load_dword v2, off, s[88:91], 0 offset:748 ; 4-byte Folded Reload
	v_add3_u32 v1, v1, v3, v190
	ds_write_b128 v0, v[78:81] offset:512
	v_mov_b32_e32 v83, v190
	buffer_store_dword v84, off, s[88:91], 0 offset:608 ; 4-byte Folded Spill
	s_waitcnt vmcnt(1)
	v_lshlrev_b32_e32 v3, 1, v2
	v_add3_u32 v0, v0, s70, v3
	v_mov_b32_e32 v78, v3
	v_add_u32_e32 v3, 0x100, v2
	buffer_load_dword v2, off, s[88:91], 0 offset:752 ; 4-byte Folded Reload
	ds_write_b128 v0, v[74:77] offset:512
	v_mov_b32_e32 v74, v3
	buffer_store_dword v78, off, s[88:91], 0 offset:556 ; 4-byte Folded Spill
	s_waitcnt vmcnt(1)
	v_add_u32_e32 v190, 0x100, v2
	v_lshlrev_b32_e32 v2, 1, v2
	v_add3_u32 v0, v0, s70, v2
	v_mov_b32_e32 v76, v2
	buffer_load_dword v2, off, s[88:91], 0 offset:756 ; 4-byte Folded Reload
	v_add3_u32 v1, v1, v3, v190
	v_mov_b32_e32 v75, v190
	ds_write_b128 v0, v[70:73] offset:512
	buffer_store_dword v76, off, s[88:91], 0 offset:532 ; 4-byte Folded Spill
	s_waitcnt vmcnt(1)
	v_lshlrev_b32_e32 v3, 1, v2
	v_add3_u32 v0, v0, s70, v3
	v_add_u32_e32 v190, 0x100, v2
	buffer_store_dword v0, off, s[88:91], 0 offset:464 ; 4-byte Folded Spill
	v_mov_b32_e32 v70, v3
	ds_write_b128 v0, v[66:69] offset:512
	v_add3_u32 v0, v1, v190, v218
	buffer_store_dword v70, off, s[88:91], 0 offset:536 ; 4-byte Folded Spill
	buffer_store_dword v0, off, s[88:91], 0 offset:460 ; 4-byte Folded Spill
	buffer_load_dword v28, off, s[88:91], 0 offset:280 ; 4-byte Folded Reload
	buffer_load_dword v29, off, s[88:91], 0 offset:284 ; 4-byte Folded Reload
	;; [unrolled: 1-line block ×4, first 2 shown]
	v_cndmask_b32_e64 v3, 0, v65, s[38:39]
	v_cndmask_b32_e64 v2, 0, v64, s[38:39]
	;; [unrolled: 1-line block ×4, first 2 shown]
	s_waitcnt vmcnt(0)
	v_cndmask_b32_e64 v37, 0, v31, s[46:47]
	v_cndmask_b32_e64 v36, 0, v30, s[46:47]
	;; [unrolled: 1-line block ×4, first 2 shown]
	buffer_load_dword v28, off, s[88:91], 0 offset:264 ; 4-byte Folded Reload
	buffer_load_dword v29, off, s[88:91], 0 offset:268 ; 4-byte Folded Reload
	;; [unrolled: 1-line block ×32, first 2 shown]
	s_waitcnt vmcnt(29)
	v_cndmask_b32_e64 v32, 0, v30, s[48:49]
	v_cndmask_b32_e64 v30, 0, v28, s[48:49]
	v_lshlrev_b32_e32 v28, 1, v202
	ds_write_b128 v28, v[0:3] offset:16384
	v_add3_u32 v0, v28, s86, v102
	ds_write_b128 v0, v[4:7] offset:512
	v_add3_u32 v0, v0, s70, v106
	;; [unrolled: 2-line block ×7, first 2 shown]
	s_waitcnt vmcnt(28)
	v_cndmask_b32_e64 v33, 0, v31, s[48:49]
	v_cndmask_b32_e64 v31, 0, v29, s[48:49]
	ds_write_b128 v0, v[34:37] offset:512
	v_add3_u32 v0, v0, s70, v255
	s_waitcnt vmcnt(24)
	v_cndmask_b32_e64 v41, 0, v41, s[50:51]
	v_cndmask_b32_e64 v40, 0, v40, s[50:51]
	v_cndmask_b32_e64 v39, 0, v39, s[50:51]
	v_cndmask_b32_e64 v38, 0, v38, s[50:51]
	v_add3_u32 v1, v202, v103, v104
	ds_write_b128 v0, v[30:33] offset:512
	v_add3_u32 v0, v0, s70, v94
	s_waitcnt vmcnt(20)
	v_cndmask_b32_e64 v45, 0, v45, s[52:53]
	v_cndmask_b32_e64 v44, 0, v44, s[52:53]
	v_cndmask_b32_e64 v43, 0, v43, s[52:53]
	v_cndmask_b32_e64 v42, 0, v42, s[52:53]
	v_add3_u32 v1, v1, v107, v108
	;; [unrolled: 8-line block ×7, first 2 shown]
	ds_write_b128 v0, v[58:61] offset:512
	v_add3_u32 v0, v0, s70, v70
	buffer_store_dword v0, off, s[88:91], 0 offset:456 ; 4-byte Folded Spill
	ds_write_b128 v0, v[62:65] offset:512
	v_add3_u32 v0, v1, v190, v218
	buffer_store_dword v202, off, s[88:91], 0 offset:760 ; 4-byte Folded Spill
	buffer_store_dword v0, off, s[88:91], 0 offset:452 ; 4-byte Folded Spill
	;; [unrolled: 1-line block ×3, first 2 shown]
	buffer_load_dword v0, off, s[88:91], 0 offset:100 ; 4-byte Folded Reload
	v_add_u32_e32 v1, v231, v203
	buffer_store_dword v1, off, s[88:91], 0 offset:152 ; 4-byte Folded Spill
	s_waitcnt vmcnt(1)
	v_add_u32_e32 v0, v231, v0
	buffer_store_dword v0, off, s[88:91], 0 offset:168 ; 4-byte Folded Spill
	buffer_load_dwordx4 v[126:129], v1, s[72:75], 0 offen offset:1024
	buffer_load_dwordx4 v[122:125], v0, s[72:75], 0 offen offset:1024
	s_nop 0
	buffer_load_dword v0, off, s[88:91], 0 offset:96 ; 4-byte Folded Reload
	s_waitcnt vmcnt(0)
	v_add_u32_e32 v1, v231, v0
	buffer_load_dword v0, off, s[88:91], 0 offset:92 ; 4-byte Folded Reload
	s_waitcnt vmcnt(0)
	v_add_u32_e32 v0, v231, v0
	buffer_store_dword v1, off, s[88:91], 0 offset:184 ; 4-byte Folded Spill
	buffer_store_dword v0, off, s[88:91], 0 offset:200 ; 4-byte Folded Spill
	buffer_load_dwordx4 v[118:121], v1, s[72:75], 0 offen offset:1024
	buffer_load_dwordx4 v[114:117], v0, s[72:75], 0 offen offset:1024
	s_nop 0
	buffer_load_dword v0, off, s[88:91], 0 offset:88 ; 4-byte Folded Reload
	s_waitcnt vmcnt(0)
	v_add_u32_e32 v1, v231, v0
	buffer_load_dword v0, off, s[88:91], 0 offset:84 ; 4-byte Folded Reload
	s_waitcnt vmcnt(0)
	v_add_u32_e32 v0, v231, v0
	buffer_store_dword v1, off, s[88:91], 0 offset:232 ; 4-byte Folded Spill
	;; [unrolled: 11-line block ×5, first 2 shown]
	buffer_store_dword v0, off, s[88:91], 0 offset:408 ; 4-byte Folded Spill
	buffer_load_dwordx4 v[86:89], v1, s[72:75], 0 offen offset:1024
	buffer_load_dwordx4 v[82:85], v0, s[72:75], 0 offen offset:1024
	buffer_load_dword v254, off, s[88:91], 0 offset:384 ; 4-byte Folded Reload
	buffer_load_dword v249, off, s[88:91], 0 offset:380 ; 4-byte Folded Reload
	s_waitcnt vmcnt(1)
	v_add_u32_e32 v0, v231, v254
	s_waitcnt vmcnt(0)
	v_add_u32_e32 v1, v231, v249
	buffer_load_dwordx4 v[78:81], v0, s[72:75], 0 offen offset:1024
	buffer_load_dwordx4 v[74:77], v1, s[72:75], 0 offen offset:1024
	s_nop 0
	buffer_load_dword v0, off, s[88:91], 0 offset:56 ; 4-byte Folded Reload
	s_waitcnt vmcnt(0)
	v_add_u32_e32 v1, v231, v0
	buffer_load_dword v0, off, s[88:91], 0 offset:40 ; 4-byte Folded Reload
	s_waitcnt vmcnt(0)
	v_add_u32_e32 v0, v231, v0
	buffer_store_dword v1, off, s[88:91], 0 offset:420 ; 4-byte Folded Spill
	buffer_store_dword v0, off, s[88:91], 0 offset:416 ; 4-byte Folded Spill
	buffer_load_dwordx4 v[70:73], v1, s[72:75], 0 offen offset:1024
	buffer_load_dwordx4 v[66:69], v0, s[72:75], 0 offen offset:1024
	buffer_load_dword v248, off, s[88:91], 0 offset:376 ; 4-byte Folded Reload
	buffer_load_dword v229, off, s[88:91], 0 offset:372 ; 4-byte Folded Reload
	s_waitcnt vmcnt(1)
	v_add_u32_e32 v0, v231, v248
	s_waitcnt vmcnt(0)
	v_add_u32_e32 v1, v231, v229
	buffer_load_dwordx4 v[62:65], v0, s[76:79], 0 offen offset:1024
	buffer_load_dwordx4 v[58:61], v1, s[76:79], 0 offen offset:1024
	s_nop 0
	buffer_load_dword v0, off, s[88:91], 0 offset:24 ; 4-byte Folded Reload
	s_waitcnt vmcnt(0)
	v_add_u32_e32 v1, v231, v0
	buffer_load_dword v0, off, s[88:91], 0 offset:8 ; 4-byte Folded Reload
	s_waitcnt vmcnt(0)
	v_add_u32_e32 v0, v231, v0
	buffer_store_dword v1, off, s[88:91], 0 offset:428 ; 4-byte Folded Spill
	buffer_store_dword v0, off, s[88:91], 0 offset:424 ; 4-byte Folded Spill
	buffer_load_dwordx4 v[54:57], v1, s[76:79], 0 offen offset:1024
	buffer_load_dwordx4 v[50:53], v0, s[76:79], 0 offen offset:1024
	buffer_load_dword v228, off, s[88:91], 0 offset:368 ; 4-byte Folded Reload
	buffer_load_dword v219, off, s[88:91], 0 offset:364 ; 4-byte Folded Reload
	s_waitcnt vmcnt(1)
	v_add_u32_e32 v0, v231, v228
	s_waitcnt vmcnt(0)
	v_add_u32_e32 v1, v231, v219
	buffer_load_dwordx4 v[130:133], v0, s[76:79], 0 offen offset:1024
	buffer_load_dwordx4 v[134:137], v1, s[76:79], 0 offen offset:1024
	s_nop 0
	buffer_load_dword v0, off, s[88:91], 0 offset:4 ; 4-byte Folded Reload
	s_waitcnt vmcnt(0)
	v_add_u32_e32 v1, v231, v0
	buffer_load_dword v0, off, s[88:91], 0  ; 4-byte Folded Reload
	s_waitcnt vmcnt(0)
	v_add_u32_e32 v0, v231, v0
	buffer_store_dword v1, off, s[88:91], 0 offset:436 ; 4-byte Folded Spill
	buffer_store_dword v0, off, s[88:91], 0 offset:432 ; 4-byte Folded Spill
	buffer_load_dwordx4 v[138:141], v1, s[76:79], 0 offen offset:1024
	buffer_load_dwordx4 v[142:145], v0, s[76:79], 0 offen offset:1024
	v_add_u32_e32 v0, v231, v209
	v_add_u32_e32 v1, v231, v208
	buffer_store_dword v0, off, s[88:91], 0 offset:444 ; 4-byte Folded Spill
	buffer_store_dword v1, off, s[88:91], 0 offset:440 ; 4-byte Folded Spill
	buffer_load_dwordx4 v[206:209], v0, s[76:79], 0 offen offset:1024
	buffer_load_dwordx4 v[210:213], v1, s[76:79], 0 offen offset:1024
	buffer_load_dword v191, off, s[88:91], 0 offset:360 ; 4-byte Folded Reload
	buffer_load_dword v190, off, s[88:91], 0 offset:356 ; 4-byte Folded Reload
	s_waitcnt vmcnt(1)
	v_add_u32_e32 v0, v231, v191
	buffer_load_dwordx4 v[2:5], v0, s[76:79], 0 offen offset:1024
	s_waitcnt vmcnt(1)
	v_add_u32_e32 v1, v231, v190
	s_waitcnt vmcnt(0)
	buffer_store_dword v2, off, s[88:91], 0 offset:568 ; 4-byte Folded Spill
	s_nop 0
	buffer_store_dword v3, off, s[88:91], 0 offset:572 ; 4-byte Folded Spill
	buffer_store_dword v4, off, s[88:91], 0 offset:576 ; 4-byte Folded Spill
	;; [unrolled: 1-line block ×3, first 2 shown]
	buffer_load_dwordx4 v[0:3], v1, s[76:79], 0 offen offset:1024
	s_waitcnt vmcnt(0)
	buffer_store_dword v0, off, s[88:91], 0 offset:540 ; 4-byte Folded Spill
	s_nop 0
	buffer_store_dword v1, off, s[88:91], 0 offset:544 ; 4-byte Folded Spill
	buffer_store_dword v2, off, s[88:91], 0 offset:548 ; 4-byte Folded Spill
	;; [unrolled: 1-line block ×3, first 2 shown]
	buffer_load_dword v49, off, s[88:91], 0 offset:352 ; 4-byte Folded Reload
	buffer_load_dword v48, off, s[88:91], 0 offset:348 ; 4-byte Folded Reload
	s_waitcnt vmcnt(1)
	v_add_u32_e32 v0, v231, v49
	buffer_load_dwordx4 v[2:5], v0, s[76:79], 0 offen offset:1024
	s_waitcnt vmcnt(1)
	v_add_u32_e32 v1, v231, v48
	s_waitcnt vmcnt(0)
	buffer_store_dword v2, off, s[88:91], 0 offset:516 ; 4-byte Folded Spill
	s_nop 0
	buffer_store_dword v3, off, s[88:91], 0 offset:520 ; 4-byte Folded Spill
	buffer_store_dword v4, off, s[88:91], 0 offset:524 ; 4-byte Folded Spill
	;; [unrolled: 1-line block ×3, first 2 shown]
	buffer_load_dwordx4 v[0:3], v1, s[76:79], 0 offen offset:1024
	s_waitcnt vmcnt(0)
	buffer_store_dword v0, off, s[88:91], 0 offset:500 ; 4-byte Folded Spill
	s_nop 0
	buffer_store_dword v1, off, s[88:91], 0 offset:504 ; 4-byte Folded Spill
	buffer_store_dword v2, off, s[88:91], 0 offset:508 ; 4-byte Folded Spill
	;; [unrolled: 1-line block ×3, first 2 shown]
	v_add_u32_e32 v0, v231, v230
	buffer_store_dword v0, off, s[88:91], 0 offset:448 ; 4-byte Folded Spill
	buffer_load_dword v230, off, s[88:91], 0 offset:344 ; 4-byte Folded Reload
	buffer_load_dwordx4 v[2:5], v0, s[76:79], 0 offen offset:1024
	s_waitcnt vmcnt(0)
	buffer_store_dword v2, off, s[88:91], 0 offset:484 ; 4-byte Folded Spill
	s_nop 0
	buffer_store_dword v3, off, s[88:91], 0 offset:488 ; 4-byte Folded Spill
	buffer_store_dword v4, off, s[88:91], 0 offset:492 ; 4-byte Folded Spill
	;; [unrolled: 1-line block ×3, first 2 shown]
	v_add_u32_e32 v1, v231, v230
	buffer_load_dwordx4 v[0:3], v1, s[76:79], 0 offen offset:1024
	s_waitcnt vmcnt(0)
	buffer_store_dword v0, off, s[88:91], 0 offset:468 ; 4-byte Folded Spill
	s_nop 0
	buffer_store_dword v1, off, s[88:91], 0 offset:472 ; 4-byte Folded Spill
	buffer_store_dword v2, off, s[88:91], 0 offset:476 ; 4-byte Folded Spill
	;; [unrolled: 1-line block ×3, first 2 shown]
	s_waitcnt lgkmcnt(0)
	; wave barrier
	buffer_load_dword v0, off, s[88:91], 0 offset:148 ; 4-byte Folded Reload
	s_waitcnt vmcnt(0)
	ds_read_b128 v[198:201], v0
	ds_read_b128 v[232:235], v0 offset:16384
	buffer_load_dword v0, off, s[88:91], 0 offset:104 ; 4-byte Folded Reload
	s_waitcnt vmcnt(0)
	ds_read_b128 v[236:239], v0
	ds_read_b128 v[240:243], v0 offset:16384
	;; [unrolled: 4-line block ×3, first 2 shown]
	ds_read_b128 v[220:223], v247
	ds_read_b128 v[186:189], v247 offset:16384
	ds_read_b128 v[202:205], v245
	ds_read_b128 v[36:39], v245 offset:16384
	buffer_load_dword v0, off, s[88:91], 0 offset:112 ; 4-byte Folded Reload
	s_waitcnt vmcnt(0)
	ds_read_b128 v[182:185], v0
	ds_read_b128 v[178:181], v0 offset:16384
	ds_read_b128 v[166:169], v246
	ds_read_b128 v[162:165], v246 offset:16384
	;; [unrolled: 2-line block ×3, first 2 shown]
	buffer_load_dword v0, off, s[88:91], 0 offset:144 ; 4-byte Folded Reload
	s_waitcnt vmcnt(0)
	ds_read_b128 v[244:247], v0 offset:8192
	ds_read_b128 v[0:3], v0 offset:24576
	buffer_load_dword v4, off, s[88:91], 0 offset:140 ; 4-byte Folded Reload
	s_waitcnt vmcnt(0)
	ds_read_b128 v[8:11], v4 offset:8192
	ds_read_b128 v[4:7], v4 offset:24576
	;; [unrolled: 4-line block ×8, first 2 shown]
	; sched_barrier mask(0x00000000)
	; wave barrier
	; sched_barrier mask(0x00000000)
	s_waitcnt lgkmcnt(14)
	v_mfma_f32_16x16x16f16 v[224:227], v[198:199], v[232:233], v[224:227]
	v_mfma_f32_16x16x16f16 v[224:227], v[200:201], v[234:235], v[224:227]
	; sched_barrier mask(0x00000000)
	s_setprio 1
	; sched_barrier mask(0x00000000)
	v_mfma_f32_16x16x16f16 v[196:199], v[198:199], v[0:1], v[214:217]
	s_nop 6
	buffer_load_dword v214, off, s[88:91], 0 offset:296 ; 4-byte Folded Reload
	buffer_load_dword v215, off, s[88:91], 0 offset:300 ; 4-byte Folded Reload
	;; [unrolled: 1-line block ×4, first 2 shown]
	v_mfma_f32_16x16x16f16 v[196:199], v[200:201], v[2:3], v[196:199]
	v_mfma_f32_16x16x16f16 v[224:227], v[236:237], v[240:241], v[224:227]
	;; [unrolled: 1-line block ×3, first 2 shown]
	s_waitcnt lgkmcnt(12)
	v_mfma_f32_16x16x16f16 v[196:199], v[236:237], v[4:5], v[196:199]
	v_mfma_f32_16x16x16f16 v[196:199], v[238:239], v[6:7], v[196:199]
	s_waitcnt vmcnt(0)
	v_mfma_f32_16x16x16f16 v[214:217], v[244:245], v[232:233], v[214:217]
	v_mfma_f32_16x16x16f16 v[214:217], v[246:247], v[234:235], v[214:217]
	buffer_load_dword v232, off, s[88:91], 0 offset:312 ; 4-byte Folded Reload
	buffer_load_dword v233, off, s[88:91], 0 offset:316 ; 4-byte Folded Reload
	;; [unrolled: 1-line block ×4, first 2 shown]
	v_mfma_f32_16x16x16f16 v[214:217], v[8:9], v[240:241], v[214:217]
	v_mfma_f32_16x16x16f16 v[214:217], v[10:11], v[242:243], v[214:217]
	s_waitcnt vmcnt(0)
	v_mfma_f32_16x16x16f16 v[232:235], v[244:245], v[0:1], v[232:235]
	v_mfma_f32_16x16x16f16 v[0:3], v[246:247], v[2:3], v[232:235]
	s_nop 7
	s_nop 1
	buffer_load_dword v234, off, s[88:91], 0 offset:616 ; 4-byte Folded Reload
	buffer_load_dword v233, off, s[88:91], 0 offset:612 ; 4-byte Folded Reload
	v_mov_b32_e32 v235, v255
	v_mfma_f32_16x16x16f16 v[0:3], v[8:9], v[4:5], v[0:3]
	v_mfma_f32_16x16x16f16 v[0:3], v[10:11], v[6:7], v[0:3]
	v_mfma_f32_16x16x16f16 v[4:7], v[250:251], v[192:193], v[224:227]
	v_mfma_f32_16x16x16f16 v[4:7], v[252:253], v[194:195], v[4:7]
	s_waitcnt lgkmcnt(10)
	v_mfma_f32_16x16x16f16 v[8:11], v[250:251], v[12:13], v[196:199]
	v_mfma_f32_16x16x16f16 v[8:11], v[252:253], v[14:15], v[8:11]
	v_mfma_f32_16x16x16f16 v[4:7], v[220:221], v[186:187], v[4:7]
	v_mfma_f32_16x16x16f16 v[4:7], v[222:223], v[188:189], v[4:7]
	s_waitcnt lgkmcnt(8)
	;; [unrolled: 5-line block ×3, first 2 shown]
	v_mfma_f32_16x16x16f16 v[8:11], v[202:203], v[28:29], v[8:11]
	v_mfma_f32_16x16x16f16 v[0:3], v[16:17], v[12:13], v[0:3]
	v_mfma_f32_16x16x16f16 v[8:11], v[204:205], v[30:31], v[8:11]
	v_mfma_f32_16x16x16f16 v[4:7], v[182:183], v[178:179], v[4:7]
	v_mfma_f32_16x16x16f16 v[0:3], v[18:19], v[14:15], v[0:3]
	v_mfma_f32_16x16x16f16 v[4:7], v[184:185], v[180:181], v[4:7]
	s_waitcnt lgkmcnt(4)
	v_mfma_f32_16x16x16f16 v[8:11], v[182:183], v[40:41], v[8:11]
	v_mfma_f32_16x16x16f16 v[0:3], v[24:25], v[20:21], v[0:3]
	v_mfma_f32_16x16x16f16 v[8:11], v[184:185], v[42:43], v[8:11]
	v_mfma_f32_16x16x16f16 v[4:7], v[166:167], v[162:163], v[4:7]
	v_mfma_f32_16x16x16f16 v[0:3], v[26:27], v[22:23], v[0:3]
	v_mfma_f32_16x16x16f16 v[4:7], v[168:169], v[164:165], v[4:7]
	s_waitcnt lgkmcnt(2)
	;; [unrolled: 7-line block ×3, first 2 shown]
	v_mfma_f32_16x16x16f16 v[4:7], v[150:151], v[158:159], v[8:11]
	v_mfma_f32_16x16x16f16 v[196:199], v[16:17], v[192:193], v[214:217]
	;; [unrolled: 1-line block ×3, first 2 shown]
	s_nop 7
	s_nop 2
	buffer_store_dword v4, off, s[88:91], 0 offset:312 ; 4-byte Folded Spill
	s_nop 0
	buffer_store_dword v5, off, s[88:91], 0 offset:316 ; 4-byte Folded Spill
	buffer_store_dword v6, off, s[88:91], 0 offset:320 ; 4-byte Folded Spill
	buffer_store_dword v7, off, s[88:91], 0 offset:324 ; 4-byte Folded Spill
	v_mfma_f32_16x16x16f16 v[192:195], v[18:19], v[194:195], v[196:199]
	buffer_load_dword v153, off, s[88:91], 0 offset:608 ; 4-byte Folded Reload
	buffer_load_dword v152, off, s[88:91], 0 offset:604 ; 4-byte Folded Reload
	v_mfma_f32_16x16x16f16 v[12:15], v[24:25], v[186:187], v[192:195]
	v_mfma_f32_16x16x16f16 v[12:15], v[26:27], v[188:189], v[12:15]
	;; [unrolled: 1-line block ×13, first 2 shown]
	s_nop 7
	s_nop 2
	buffer_store_dword v4, off, s[88:91], 0 offset:296 ; 4-byte Folded Spill
	s_nop 0
	buffer_store_dword v5, off, s[88:91], 0 offset:300 ; 4-byte Folded Spill
	buffer_store_dword v6, off, s[88:91], 0 offset:304 ; 4-byte Folded Spill
	;; [unrolled: 1-line block ×3, first 2 shown]
	v_mfma_f32_16x16x16f16 v[0:3], v[172:173], v[176:177], v[0:3]
	; sched_barrier mask(0x00000000)
	s_waitcnt lgkmcnt(0)
	; wave barrier
	; sched_barrier mask(0x00000000)
	v_mfma_f32_16x16x16f16 v[0:3], v[154:155], v[158:159], v[0:3]
	v_mfma_f32_16x16x16f16 v[0:3], v[156:157], v[160:161], v[0:3]
	s_nop 7
	s_nop 2
	buffer_store_dword v0, off, s[88:91], 0 offset:328 ; 4-byte Folded Spill
	s_nop 0
	buffer_store_dword v1, off, s[88:91], 0 offset:332 ; 4-byte Folded Spill
	buffer_store_dword v2, off, s[88:91], 0 offset:336 ; 4-byte Folded Spill
	;; [unrolled: 1-line block ×3, first 2 shown]
	; sched_barrier mask(0x00000000)
	s_setprio 0
	; sched_barrier mask(0x00000000)
	v_cndmask_b32_e64 v44, 0, v86, s[18:19]
	buffer_load_dword v86, off, s[88:91], 0 offset:464 ; 4-byte Folded Reload
	v_cndmask_b32_e64 v35, 0, v101, s[12:13]
	buffer_load_dword v101, off, s[88:91], 0 offset:600 ; 4-byte Folded Reload
	v_lshlrev_b32_e32 v146, 1, v218
	v_cndmask_b32_e64 v3, 0, v129, s[4:5]
	v_cndmask_b32_e64 v2, 0, v128, s[4:5]
	;; [unrolled: 1-line block ×4, first 2 shown]
	v_cndmask_b32_e32 v7, 0, v125, vcc
	v_cndmask_b32_e32 v6, 0, v124, vcc
	;; [unrolled: 1-line block ×4, first 2 shown]
	v_cndmask_b32_e64 v24, 0, v102, s[10:11]
	v_cndmask_b32_e64 v34, 0, v100, s[12:13]
	;; [unrolled: 1-line block ×54, first 2 shown]
	s_add_i32 s71, s71, 2
	s_cmp_lt_i32 s71, s87
	s_waitcnt vmcnt(1)
	v_add3_u32 v86, v86, s70, v146
	ds_write_b128 v86, v[0:3]
	s_waitcnt vmcnt(0)
	v_add_u32_e32 v0, v86, v101
	ds_write_b128 v0, v[4:7] offset:512
	buffer_load_dword v94, off, s[88:91], 0 offset:648 ; 4-byte Folded Reload
	buffer_load_dword v100, off, s[88:91], 0 offset:652 ; 4-byte Folded Reload
	;; [unrolled: 1-line block ×5, first 2 shown]
	v_cndmask_b32_e64 v3, 0, v65, s[38:39]
	v_cndmask_b32_e64 v2, 0, v64, s[38:39]
	;; [unrolled: 1-line block ×6, first 2 shown]
	v_mov_b32_e32 v253, v101
	s_waitcnt vmcnt(2)
	v_add3_u32 v1, v1, v100, v94
	s_waitcnt vmcnt(1)
	v_add3_u32 v0, v0, s70, v102
	ds_write_b128 v0, v[8:11] offset:512
	s_waitcnt vmcnt(0)
	v_add3_u32 v0, v0, s70, v95
	ds_write_b128 v0, v[12:15] offset:512
	buffer_load_dword v86, off, s[88:91], 0 offset:660 ; 4-byte Folded Reload
	buffer_load_dword v90, off, s[88:91], 0 offset:656 ; 4-byte Folded Reload
	;; [unrolled: 1-line block ×4, first 2 shown]
	v_cndmask_b32_e64 v11, 0, v57, s[34:35]
	v_cndmask_b32_e64 v10, 0, v56, s[34:35]
	;; [unrolled: 1-line block ×8, first 2 shown]
	v_mov_b32_e32 v251, v102
	v_mov_b32_e32 v252, v95
	s_waitcnt vmcnt(2)
	v_add3_u32 v1, v1, v90, v86
	s_waitcnt vmcnt(1)
	v_add3_u32 v0, v0, s70, v97
	ds_write_b128 v0, v[16:19] offset:512
	s_waitcnt vmcnt(0)
	v_add3_u32 v0, v0, s70, v96
	ds_write_b128 v0, v[20:23] offset:512
	v_add3_u32 v0, v0, s70, v233
	buffer_load_dword v87, off, s[88:91], 0 offset:668 ; 4-byte Folded Reload
	buffer_load_dword v91, off, s[88:91], 0 offset:664 ; 4-byte Folded Reload
	ds_write_b128 v0, v[24:27] offset:512
	v_add3_u32 v0, v0, s70, v234
	ds_write_b128 v0, v[32:35] offset:512
	buffer_load_dword v88, off, s[88:91], 0 offset:676 ; 4-byte Folded Reload
	buffer_load_dword v92, off, s[88:91], 0 offset:672 ; 4-byte Folded Reload
	;; [unrolled: 1-line block ×3, first 2 shown]
	v_add3_u32 v0, v0, s70, v235
	ds_write_b128 v0, v[36:39] offset:512
	v_cndmask_b32_e64 v39, 0, v209, s[48:49]
	v_cndmask_b32_e64 v38, 0, v208, s[48:49]
	;; [unrolled: 1-line block ×20, first 2 shown]
	v_mov_b32_e32 v250, v97
	v_mov_b32_e32 v232, v96
	s_waitcnt vmcnt(3)
	v_add3_u32 v1, v1, v91, v87
	s_waitcnt vmcnt(1)
	v_add3_u32 v1, v1, v92, v88
	;; [unrolled: 2-line block ×3, first 2 shown]
	ds_write_b128 v0, v[40:43] offset:512
	buffer_load_dword v89, off, s[88:91], 0 offset:624 ; 4-byte Folded Reload
	buffer_load_dword v93, off, s[88:91], 0 offset:620 ; 4-byte Folded Reload
	;; [unrolled: 1-line block ×3, first 2 shown]
	v_cndmask_b32_e64 v43, 0, v213, s[50:51]
	v_cndmask_b32_e64 v42, 0, v212, s[50:51]
	;; [unrolled: 1-line block ×4, first 2 shown]
	v_mov_b32_e32 v155, v98
	s_waitcnt vmcnt(1)
	v_add3_u32 v1, v1, v93, v89
	s_waitcnt vmcnt(0)
	v_add3_u32 v0, v0, s70, v99
	ds_write_b128 v0, v[44:47] offset:512
	v_add3_u32 v0, v0, s70, v152
	ds_write_b128 v0, v[82:85] offset:512
	v_add3_u32 v0, v0, s70, v153
	buffer_load_dword v82, off, s[88:91], 0 offset:628 ; 4-byte Folded Reload
	buffer_load_dword v83, off, s[88:91], 0 offset:680 ; 4-byte Folded Reload
	ds_write_b128 v0, v[78:81] offset:512
	buffer_load_dword v78, off, s[88:91], 0 offset:556 ; 4-byte Folded Reload
	v_mov_b32_e32 v151, v99
	s_waitcnt vmcnt(1)
	v_add3_u32 v1, v1, v83, v82
	s_waitcnt vmcnt(0)
	v_add3_u32 v0, v0, s70, v78
	ds_write_b128 v0, v[74:77] offset:512
	buffer_load_dword v74, off, s[88:91], 0 offset:688 ; 4-byte Folded Reload
	buffer_load_dword v75, off, s[88:91], 0 offset:684 ; 4-byte Folded Reload
	buffer_load_dword v76, off, s[88:91], 0 offset:532 ; 4-byte Folded Reload
	buffer_load_dword v209, off, s[88:91], 0 offset:396 ; 4-byte Folded Reload
	buffer_load_dword v208, off, s[88:91], 0 offset:392 ; 4-byte Folded Reload
	s_waitcnt vmcnt(3)
	v_add3_u32 v1, v1, v75, v74
	s_waitcnt vmcnt(2)
	v_add3_u32 v0, v0, s70, v76
	ds_write_b128 v0, v[70:73] offset:512
	buffer_load_dword v72, off, s[88:91], 0 offset:536 ; 4-byte Folded Reload
	buffer_load_dword v71, off, s[88:91], 0 offset:692 ; 4-byte Folded Reload
	s_waitcnt vmcnt(2)
	v_add_u32_e32 v208, 0x400, v208
	v_add_u32_e32 v209, 0x400, v209
	s_waitcnt vmcnt(1)
	v_add3_u32 v147, v0, s70, v72
	ds_write_b128 v147, v[66:69] offset:512
	s_waitcnt vmcnt(0)
	v_add3_u32 v149, v1, v71, v218
	v_cndmask_b32_e64 v1, 0, v63, s[38:39]
	v_cndmask_b32_e64 v0, 0, v62, s[38:39]
	buffer_load_dword v44, off, s[88:91], 0 offset:568 ; 4-byte Folded Reload
	buffer_load_dword v45, off, s[88:91], 0 offset:572 ; 4-byte Folded Reload
	;; [unrolled: 1-line block ×25, first 2 shown]
	v_mov_b32_e32 v154, v72
	s_waitcnt vmcnt(21)
	v_cndmask_b32_e64 v47, 0, v47, s[52:53]
	v_cndmask_b32_e64 v46, 0, v46, s[52:53]
	;; [unrolled: 1-line block ×4, first 2 shown]
	s_waitcnt vmcnt(17)
	v_cndmask_b32_e64 v53, 0, v53, s[54:55]
	v_cndmask_b32_e64 v52, 0, v52, s[54:55]
	s_waitcnt vmcnt(0)
	v_add3_u32 v70, v70, s70, v146
	ds_write_b128 v70, v[0:3]
	v_mov_b32_e32 v0, v101
	v_add_u32_e32 v0, v70, v0
	v_mov_b32_e32 v2, v102
	ds_write_b128 v0, v[4:7] offset:512
	v_add3_u32 v0, v0, s70, v2
	v_mov_b32_e32 v2, v95
	ds_write_b128 v0, v[8:11] offset:512
	v_add3_u32 v0, v0, s70, v2
	;; [unrolled: 3-line block ×4, first 2 shown]
	ds_write_b128 v0, v[20:23] offset:512
	v_add3_u32 v0, v0, s70, v233
	ds_write_b128 v0, v[24:27] offset:512
	v_add3_u32 v0, v0, s70, v234
	;; [unrolled: 2-line block ×3, first 2 shown]
	v_mov_b32_e32 v2, v98
	ds_write_b128 v0, v[36:39] offset:512
	v_add3_u32 v0, v0, s70, v2
	v_mov_b32_e32 v2, v99
	ds_write_b128 v0, v[40:43] offset:512
	v_add3_u32 v0, v0, s70, v2
	v_cndmask_b32_e64 v51, 0, v51, s[54:55]
	v_cndmask_b32_e64 v50, 0, v50, s[54:55]
	ds_write_b128 v0, v[44:47] offset:512
	v_add3_u32 v0, v0, s70, v152
	v_cndmask_b32_e64 v57, 0, v57, s[56:57]
	v_cndmask_b32_e64 v56, 0, v56, s[56:57]
	v_cndmask_b32_e64 v55, 0, v55, s[56:57]
	v_cndmask_b32_e64 v54, 0, v54, s[56:57]
	ds_write_b128 v0, v[50:53] offset:512
	v_add3_u32 v0, v0, s70, v153
	v_mov_b32_e32 v2, v78
	v_cndmask_b32_e64 v61, 0, v61, s[58:59]
	v_cndmask_b32_e64 v60, 0, v60, s[58:59]
	v_cndmask_b32_e64 v59, 0, v59, s[58:59]
	v_cndmask_b32_e64 v58, 0, v58, s[58:59]
	ds_write_b128 v0, v[54:57] offset:512
	v_add3_u32 v0, v0, s70, v2
	v_mov_b32_e32 v2, v76
	;; [unrolled: 7-line block ×3, first 2 shown]
	buffer_load_dword v1, off, s[88:91], 0 offset:452 ; 4-byte Folded Reload
	ds_write_b128 v0, v[62:65] offset:512
	v_add3_u32 v148, v0, s70, v2
	buffer_load_dword v0, off, s[88:91], 0 offset:152 ; 4-byte Folded Reload
	v_cndmask_b32_e64 v69, 0, v69, s[62:63]
	v_cndmask_b32_e64 v68, 0, v68, s[62:63]
	;; [unrolled: 1-line block ×4, first 2 shown]
	ds_write_b128 v148, v[66:69] offset:512
	v_mov_b32_e32 v46, v78
	v_mov_b32_e32 v47, v76
	s_waitcnt vmcnt(0)
	buffer_load_dwordx4 v[126:129], v0, s[72:75], 0 offen offset:1536
	s_nop 0
	buffer_load_dword v0, off, s[88:91], 0 offset:168 ; 4-byte Folded Reload
	v_add3_u32 v1, v1, v100, v94
	v_add3_u32 v1, v1, v90, v86
	;; [unrolled: 1-line block ×8, first 2 shown]
	s_waitcnt vmcnt(0)
	buffer_load_dwordx4 v[122:125], v0, s[72:75], 0 offen offset:1536
	s_nop 0
	buffer_load_dword v0, off, s[88:91], 0 offset:184 ; 4-byte Folded Reload
	s_waitcnt vmcnt(0)
	buffer_load_dwordx4 v[118:121], v0, s[72:75], 0 offen offset:1536
	s_nop 0
	buffer_load_dword v0, off, s[88:91], 0 offset:200 ; 4-byte Folded Reload
	;; [unrolled: 4-line block ×10, first 2 shown]
	s_waitcnt vmcnt(0)
	buffer_load_dwordx4 v[82:85], v0, s[72:75], 0 offen offset:1536
	v_add_u32_e32 v0, v231, v254
	buffer_load_dwordx4 v[78:81], v0, s[72:75], 0 offen offset:1536
	v_add_u32_e32 v0, v231, v249
	buffer_load_dwordx4 v[74:77], v0, s[72:75], 0 offen offset:1536
	s_nop 0
	buffer_load_dword v0, off, s[88:91], 0 offset:420 ; 4-byte Folded Reload
	v_add_u32_e32 v249, 0x400, v249
	v_add_u32_e32 v254, 0x400, v254
	s_waitcnt vmcnt(0)
	buffer_load_dwordx4 v[70:73], v0, s[72:75], 0 offen offset:1536
	s_nop 0
	buffer_load_dword v0, off, s[88:91], 0 offset:416 ; 4-byte Folded Reload
	s_waitcnt vmcnt(0)
	buffer_load_dwordx4 v[66:69], v0, s[72:75], 0 offen offset:1536
	v_add_u32_e32 v0, v231, v248
	buffer_load_dwordx4 v[62:65], v0, s[76:79], 0 offen offset:1536
	v_add_u32_e32 v0, v231, v229
	buffer_load_dwordx4 v[58:61], v0, s[76:79], 0 offen offset:1536
	s_nop 0
	buffer_load_dword v0, off, s[88:91], 0 offset:428 ; 4-byte Folded Reload
	v_add_u32_e32 v229, 0x400, v229
	v_add_u32_e32 v248, 0x400, v248
	s_waitcnt vmcnt(0)
	buffer_load_dwordx4 v[54:57], v0, s[76:79], 0 offen offset:1536
	s_nop 0
	buffer_load_dword v0, off, s[88:91], 0 offset:424 ; 4-byte Folded Reload
	;; [unrolled: 14-line block ×3, first 2 shown]
	s_waitcnt vmcnt(0)
	buffer_load_dwordx4 v[0:3], v0, s[76:79], 0 offen offset:1536
	s_waitcnt vmcnt(0)
	buffer_store_dword v0, off, s[88:91], 0 offset:280 ; 4-byte Folded Spill
	s_nop 0
	buffer_store_dword v1, off, s[88:91], 0 offset:284 ; 4-byte Folded Spill
	buffer_store_dword v2, off, s[88:91], 0 offset:288 ; 4-byte Folded Spill
	;; [unrolled: 1-line block ×3, first 2 shown]
	buffer_load_dword v0, off, s[88:91], 0 offset:444 ; 4-byte Folded Reload
	s_waitcnt vmcnt(0)
	buffer_load_dwordx4 v[0:3], v0, s[76:79], 0 offen offset:1536
	s_waitcnt vmcnt(0)
	buffer_store_dword v0, off, s[88:91], 0 offset:264 ; 4-byte Folded Spill
	s_nop 0
	buffer_store_dword v1, off, s[88:91], 0 offset:268 ; 4-byte Folded Spill
	buffer_store_dword v2, off, s[88:91], 0 offset:272 ; 4-byte Folded Spill
	;; [unrolled: 1-line block ×3, first 2 shown]
	buffer_load_dword v0, off, s[88:91], 0 offset:440 ; 4-byte Folded Reload
	s_waitcnt vmcnt(0)
	buffer_load_dwordx4 v[0:3], v0, s[76:79], 0 offen offset:1536
	s_waitcnt vmcnt(0)
	buffer_store_dword v0, off, s[88:91], 0 offset:248 ; 4-byte Folded Spill
	s_nop 0
	buffer_store_dword v1, off, s[88:91], 0 offset:252 ; 4-byte Folded Spill
	buffer_store_dword v2, off, s[88:91], 0 offset:256 ; 4-byte Folded Spill
	buffer_store_dword v3, off, s[88:91], 0 offset:260 ; 4-byte Folded Spill
	v_add_u32_e32 v0, v231, v191
	buffer_load_dwordx4 v[0:3], v0, s[76:79], 0 offen offset:1536
	v_add_u32_e32 v191, 0x400, v191
	s_waitcnt vmcnt(0)
	buffer_store_dword v0, off, s[88:91], 0 offset:232 ; 4-byte Folded Spill
	s_nop 0
	buffer_store_dword v1, off, s[88:91], 0 offset:236 ; 4-byte Folded Spill
	buffer_store_dword v2, off, s[88:91], 0 offset:240 ; 4-byte Folded Spill
	buffer_store_dword v3, off, s[88:91], 0 offset:244 ; 4-byte Folded Spill
	v_add_u32_e32 v0, v231, v190
	buffer_load_dwordx4 v[0:3], v0, s[76:79], 0 offen offset:1536
	v_add_u32_e32 v190, 0x400, v190
	s_waitcnt vmcnt(0)
	buffer_store_dword v0, off, s[88:91], 0 offset:216 ; 4-byte Folded Spill
	s_nop 0
	buffer_store_dword v1, off, s[88:91], 0 offset:220 ; 4-byte Folded Spill
	buffer_store_dword v2, off, s[88:91], 0 offset:224 ; 4-byte Folded Spill
	buffer_store_dword v3, off, s[88:91], 0 offset:228 ; 4-byte Folded Spill
	v_add_u32_e32 v0, v231, v49
	buffer_load_dwordx4 v[0:3], v0, s[76:79], 0 offen offset:1536
	v_add_u32_e32 v49, 0x400, v49
	s_waitcnt vmcnt(0)
	buffer_store_dword v0, off, s[88:91], 0 offset:200 ; 4-byte Folded Spill
	s_nop 0
	buffer_store_dword v1, off, s[88:91], 0 offset:204 ; 4-byte Folded Spill
	buffer_store_dword v2, off, s[88:91], 0 offset:208 ; 4-byte Folded Spill
	buffer_store_dword v3, off, s[88:91], 0 offset:212 ; 4-byte Folded Spill
	v_add_u32_e32 v0, v231, v48
	buffer_load_dwordx4 v[0:3], v0, s[76:79], 0 offen offset:1536
	v_add_u32_e32 v48, 0x400, v48
	s_waitcnt vmcnt(0)
	buffer_store_dword v0, off, s[88:91], 0 offset:184 ; 4-byte Folded Spill
	s_nop 0
	buffer_store_dword v1, off, s[88:91], 0 offset:188 ; 4-byte Folded Spill
	buffer_store_dword v2, off, s[88:91], 0 offset:192 ; 4-byte Folded Spill
	buffer_store_dword v3, off, s[88:91], 0 offset:196 ; 4-byte Folded Spill
	buffer_load_dword v0, off, s[88:91], 0 offset:448 ; 4-byte Folded Reload
	s_waitcnt vmcnt(0)
	buffer_load_dwordx4 v[0:3], v0, s[76:79], 0 offen offset:1536
	s_waitcnt vmcnt(0)
	buffer_store_dword v0, off, s[88:91], 0 offset:168 ; 4-byte Folded Spill
	s_nop 0
	buffer_store_dword v1, off, s[88:91], 0 offset:172 ; 4-byte Folded Spill
	buffer_store_dword v2, off, s[88:91], 0 offset:176 ; 4-byte Folded Spill
	;; [unrolled: 1-line block ×3, first 2 shown]
	v_add_u32_e32 v0, v231, v230
	buffer_load_dwordx4 v[0:3], v0, s[76:79], 0 offen offset:1536
	v_add_u32_e32 v230, 0x400, v230
	s_waitcnt vmcnt(0)
	buffer_store_dword v0, off, s[88:91], 0 offset:152 ; 4-byte Folded Spill
	s_nop 0
	buffer_store_dword v1, off, s[88:91], 0 offset:156 ; 4-byte Folded Spill
	buffer_store_dword v2, off, s[88:91], 0 offset:160 ; 4-byte Folded Spill
	;; [unrolled: 1-line block ×4, first 2 shown]
	buffer_load_dword v230, off, s[88:91], 0 offset:388 ; 4-byte Folded Reload
	s_nop 0
	buffer_load_dword v0, off, s[88:91], 0  ; 4-byte Folded Reload
	buffer_load_dword v203, off, s[88:91], 0 offset:400 ; 4-byte Folded Reload
	s_waitcnt vmcnt(2)
	v_add_u32_e32 v230, 0x400, v230
	buffer_store_dword v48, off, s[88:91], 0 offset:348 ; 4-byte Folded Spill
	s_waitcnt vmcnt(2)
	v_add_u32_e32 v0, 0x400, v0
	buffer_store_dword v0, off, s[88:91], 0 ; 4-byte Folded Spill
	buffer_load_dword v0, off, s[88:91], 0 offset:4 ; 4-byte Folded Reload
	s_waitcnt vmcnt(3)
	v_add_u32_e32 v203, 0x400, v203
	buffer_store_dword v49, off, s[88:91], 0 offset:352 ; 4-byte Folded Spill
	buffer_store_dword v190, off, s[88:91], 0 offset:356 ; 4-byte Folded Spill
	;; [unrolled: 1-line block ×9, first 2 shown]
	s_waitcnt vmcnt(9)
	v_add_u32_e32 v0, 0x400, v0
	buffer_store_dword v0, off, s[88:91], 0 offset:4 ; 4-byte Folded Spill
	buffer_load_dword v0, off, s[88:91], 0 offset:8 ; 4-byte Folded Reload
	s_waitcnt vmcnt(0)
	v_add_u32_e32 v0, 0x400, v0
	buffer_store_dword v0, off, s[88:91], 0 offset:8 ; 4-byte Folded Spill
	buffer_load_dword v0, off, s[88:91], 0 offset:24 ; 4-byte Folded Reload
	;; [unrolled: 4-line block ×15, first 2 shown]
	s_waitcnt vmcnt(0)
	v_add_u32_e32 v0, 0x400, v0
	buffer_store_dword v0, off, s[88:91], 0 offset:100 ; 4-byte Folded Spill
	s_cbranch_scc1 .LBB2_12
; %bb.13:
	buffer_load_dword v150, off, s[88:91], 0 offset:648 ; 4-byte Folded Reload
	buffer_load_dword v1, off, s[88:91], 0 offset:700 ; 4-byte Folded Reload
	;; [unrolled: 1-line block ×16, first 2 shown]
	s_lshl_b64 s[70:71], s[82:83], 1
	s_add_u32 s72, s80, s70
	s_mul_i32 s85, s85, s69
	s_mul_hi_u32 s67, s84, s69
	s_addc_u32 s73, s81, s71
	s_add_i32 s67, s67, s85
	s_waitcnt vmcnt(13)
	v_add3_u32 v0, v0, v1, v150
	s_waitcnt vmcnt(11)
	v_add3_u32 v0, v0, v231, v248
	;; [unrolled: 2-line block ×8, first 2 shown]
	v_add3_u32 v1, v1, v231, v248
	v_add3_u32 v1, v1, v249, v230
	;; [unrolled: 1-line block ×6, first 2 shown]
	buffer_load_dword v48, off, s[88:91], 0 offset:692 ; 4-byte Folded Reload
	buffer_load_dword v1, off, s[88:91], 0 offset:696 ; 4-byte Folded Reload
	;; [unrolled: 1-line block ×3, first 2 shown]
	v_mov_b32_e32 v254, v7
	s_waitcnt vmcnt(1)
	v_add3_u32 v0, v0, v48, v1
	s_waitcnt vmcnt(0)
	v_add3_u32 v0, v0, v49, v150
	v_add3_u32 v0, v0, v231, v248
	;; [unrolled: 1-line block ×7, first 2 shown]
	buffer_store_dword v0, off, s[88:91], 0 offset:4 ; 4-byte Folded Spill
	v_add3_u32 v0, v2, v48, v1
	v_add3_u32 v0, v0, v49, v150
	v_add3_u32 v0, v0, v231, v248
	v_add3_u32 v0, v0, v249, v230
	v_add3_u32 v0, v0, v7, v255
	v_add3_u32 v0, v0, v4, v5
	v_add3_u32 v0, v0, v157, v3
	v_add3_u32 v0, v0, v6, v156
	buffer_store_dword v0, off, s[88:91], 0 ; 4-byte Folded Spill
	s_waitcnt lgkmcnt(0)
	; wave barrier
	buffer_load_dword v149, off, s[88:91], 0 offset:148 ; 4-byte Folded Reload
	v_mov_b32_e32 v0, v6
	s_waitcnt vmcnt(0)
	ds_read_b128 v[2:5], v149
	ds_read_b128 v[6:9], v149 offset:16384
	buffer_load_dword v14, off, s[88:91], 0 offset:104 ; 4-byte Folded Reload
	s_waitcnt vmcnt(0)
	ds_read_b128 v[10:13], v14
	ds_read_b128 v[14:17], v14 offset:16384
	buffer_load_dword v22, off, s[88:91], 0 offset:108 ; 4-byte Folded Reload
	;; [unrolled: 4-line block ×7, first 2 shown]
	s_waitcnt vmcnt(0)
	ds_read_b128 v[158:161], v26
	s_waitcnt lgkmcnt(0)
	buffer_store_dword v158, off, s[88:91], 0 offset:24 ; 4-byte Folded Spill
	s_nop 0
	buffer_store_dword v159, off, s[88:91], 0 offset:28 ; 4-byte Folded Spill
	buffer_store_dword v160, off, s[88:91], 0 offset:32 ; 4-byte Folded Spill
	;; [unrolled: 1-line block ×3, first 2 shown]
	ds_read_b128 v[158:161], v26 offset:16384
	s_waitcnt lgkmcnt(0)
	buffer_store_dword v158, off, s[88:91], 0 offset:40 ; 4-byte Folded Spill
	s_nop 0
	buffer_store_dword v159, off, s[88:91], 0 offset:44 ; 4-byte Folded Spill
	buffer_store_dword v160, off, s[88:91], 0 offset:48 ; 4-byte Folded Spill
	;; [unrolled: 1-line block ×3, first 2 shown]
	buffer_load_dword v26, off, s[88:91], 0 offset:144 ; 4-byte Folded Reload
	s_waitcnt vmcnt(0)
	ds_read_b128 v[186:189], v26 offset:8192
	ds_read_b128 v[190:193], v26 offset:24576
	buffer_load_dword v26, off, s[88:91], 0 offset:140 ; 4-byte Folded Reload
	s_waitcnt vmcnt(0)
	ds_read_b128 v[194:197], v26 offset:8192
	ds_read_b128 v[202:205], v26 offset:24576
	;; [unrolled: 4-line block ×7, first 2 shown]
	buffer_load_dword v26, off, s[88:91], 0 offset:116 ; 4-byte Folded Reload
	s_waitcnt vmcnt(0)
	ds_read_b128 v[158:161], v26 offset:8192
	s_waitcnt lgkmcnt(0)
	buffer_store_dword v158, off, s[88:91], 0 offset:8 ; 4-byte Folded Spill
	s_nop 0
	buffer_store_dword v159, off, s[88:91], 0 offset:12 ; 4-byte Folded Spill
	buffer_store_dword v160, off, s[88:91], 0 offset:16 ; 4-byte Folded Spill
	;; [unrolled: 1-line block ×3, first 2 shown]
	ds_read_b128 v[158:161], v26 offset:24576
	; sched_barrier mask(0x00000000)
	; wave barrier
	; sched_barrier mask(0x00000000)
	v_mfma_f32_16x16x16f16 v[240:243], v[2:3], v[6:7], v[28:31]
	v_mfma_f32_16x16x16f16 v[240:243], v[4:5], v[8:9], v[240:243]
	; sched_barrier mask(0x00000000)
	s_setprio 1
	; sched_barrier mask(0x00000000)
	buffer_load_dword v244, off, s[88:91], 0 offset:312 ; 4-byte Folded Reload
	buffer_load_dword v245, off, s[88:91], 0 offset:316 ; 4-byte Folded Reload
	;; [unrolled: 1-line block ×4, first 2 shown]
	v_mfma_f32_16x16x16f16 v[30:33], v[10:11], v[14:15], v[240:243]
	v_mfma_f32_16x16x16f16 v[30:33], v[12:13], v[16:17], v[30:33]
	s_waitcnt vmcnt(0)
	v_mfma_f32_16x16x16f16 v[244:247], v[2:3], v[190:191], v[244:247]
	v_mfma_f32_16x16x16f16 v[2:5], v[4:5], v[192:193], v[244:247]
	s_nop 7
	s_nop 1
	buffer_load_dword v244, off, s[88:91], 0 offset:296 ; 4-byte Folded Reload
	buffer_load_dword v245, off, s[88:91], 0 offset:300 ; 4-byte Folded Reload
	;; [unrolled: 1-line block ×8, first 2 shown]
	v_mfma_f32_16x16x16f16 v[2:5], v[10:11], v[202:203], v[2:5]
	v_mfma_f32_16x16x16f16 v[2:5], v[12:13], v[204:205], v[2:5]
	;; [unrolled: 1-line block ×9, first 2 shown]
	s_waitcnt vmcnt(4)
	v_mfma_f32_16x16x16f16 v[244:247], v[186:187], v[6:7], v[244:247]
	v_mfma_f32_16x16x16f16 v[6:9], v[188:189], v[8:9], v[244:247]
	;; [unrolled: 1-line block ×8, first 2 shown]
	buffer_load_dword v18, off, s[88:91], 0 offset:40 ; 4-byte Folded Reload
	buffer_load_dword v19, off, s[88:91], 0 offset:44 ; 4-byte Folded Reload
	;; [unrolled: 1-line block ×8, first 2 shown]
	v_mfma_f32_16x16x16f16 v[14:17], v[130:131], v[134:135], v[14:17]
	v_mfma_f32_16x16x16f16 v[14:17], v[132:133], v[136:137], v[14:17]
	;; [unrolled: 1-line block ×7, first 2 shown]
	s_waitcnt vmcnt(8)
	v_mfma_f32_16x16x16f16 v[26:29], v[186:187], v[190:191], v[26:29]
	v_mfma_f32_16x16x16f16 v[14:17], v[168:169], v[164:165], v[14:17]
	;; [unrolled: 1-line block ×3, first 2 shown]
	s_waitcnt vmcnt(2)
	v_mfma_f32_16x16x16f16 v[14:17], v[22:23], v[18:19], v[14:17]
	v_mfma_f32_16x16x16f16 v[10:13], v[194:195], v[202:203], v[26:29]
	s_waitcnt vmcnt(0)
	v_mfma_f32_16x16x16f16 v[138:141], v[24:25], v[20:21], v[14:17]
	s_nop 7
	buffer_load_dword v14, off, s[88:91], 0 offset:8 ; 4-byte Folded Reload
	buffer_load_dword v15, off, s[88:91], 0 offset:12 ; 4-byte Folded Reload
	;; [unrolled: 1-line block ×4, first 2 shown]
	v_mfma_f32_16x16x16f16 v[10:13], v[196:197], v[204:205], v[10:13]
	v_mfma_f32_16x16x16f16 v[10:13], v[206:207], v[210:211], v[10:13]
	;; [unrolled: 1-line block ×20, first 2 shown]
	s_waitcnt lgkmcnt(0)
	v_mfma_f32_16x16x16f16 v[2:5], v[22:23], v[158:159], v[2:5]
	v_mfma_f32_16x16x16f16 v[10:13], v[170:171], v[174:175], v[10:13]
	;; [unrolled: 1-line block ×3, first 2 shown]
	s_waitcnt vmcnt(2)
	v_mfma_f32_16x16x16f16 v[2:5], v[14:15], v[18:19], v[6:9]
	v_mfma_f32_16x16x16f16 v[10:13], v[172:173], v[176:177], v[10:13]
	s_waitcnt vmcnt(0)
	v_mfma_f32_16x16x16f16 v[134:137], v[16:17], v[20:21], v[2:5]
	; sched_barrier mask(0x00000000)
	s_waitcnt lgkmcnt(0)
	; wave barrier
	; sched_barrier mask(0x00000000)
	v_mfma_f32_16x16x16f16 v[2:5], v[14:15], v[158:159], v[10:13]
	v_mfma_f32_16x16x16f16 v[142:145], v[16:17], v[160:161], v[2:5]
	; sched_barrier mask(0x00000000)
	s_setprio 0
	; sched_barrier mask(0x00000000)
	s_nop 7
	s_nop 0
	v_cndmask_b32_e64 v5, 0, v129, s[4:5]
	v_cndmask_b32_e64 v4, 0, v128, s[4:5]
	;; [unrolled: 1-line block ×9, first 2 shown]
	v_add_u32_e32 v98, v147, v146
	s_movk_i32 s0, 0x200
	v_cndmask_b32_e32 v9, 0, v125, vcc
	v_cndmask_b32_e32 v8, 0, v124, vcc
	;; [unrolled: 1-line block ×4, first 2 shown]
	ds_write_b128 v98, v[2:5] offset:512
	v_add3_u32 v2, v98, s0, v253
	ds_write_b128 v2, v[6:9] offset:512
	v_add3_u32 v2, v2, s0, v251
	v_cndmask_b32_e64 v17, 0, v117, s[2:3]
	v_cndmask_b32_e64 v16, 0, v116, s[2:3]
	v_cndmask_b32_e64 v15, 0, v115, s[2:3]
	v_cndmask_b32_e64 v14, 0, v114, s[2:3]
	ds_write_b128 v2, v[10:13] offset:512
	v_add3_u32 v2, v2, s0, v252
	v_cndmask_b32_e64 v21, 0, v113, s[6:7]
	v_cndmask_b32_e64 v20, 0, v112, s[6:7]
	v_cndmask_b32_e64 v19, 0, v111, s[6:7]
	v_cndmask_b32_e64 v18, 0, v110, s[6:7]
	;; [unrolled: 6-line block ×4, first 2 shown]
	v_cndmask_b32_e64 v32, 0, v100, s[12:13]
	v_mov_b32_e32 v100, v1
	buffer_load_dword v1, off, s[88:91], 0 offset:4 ; 4-byte Folded Reload
	ds_write_b128 v2, v[22:25] offset:512
	v_add3_u32 v2, v2, s0, v233
	v_cndmask_b32_e64 v33, 0, v101, s[12:13]
	v_cndmask_b32_e64 v31, 0, v99, s[12:13]
	ds_write_b128 v2, v[26:29] offset:512
	v_add3_u32 v2, v2, s0, v234
	v_cndmask_b32_e64 v97, 0, v97, s[14:15]
	v_cndmask_b32_e64 v96, 0, v96, s[14:15]
	v_cndmask_b32_e64 v95, 0, v95, s[14:15]
	v_cndmask_b32_e64 v94, 0, v94, s[14:15]
	ds_write_b128 v2, v[30:33] offset:512
	v_add3_u32 v2, v2, s0, v235
	v_cndmask_b32_e64 v93, 0, v93, s[16:17]
	v_cndmask_b32_e64 v92, 0, v92, s[16:17]
	v_cndmask_b32_e64 v91, 0, v91, s[16:17]
	v_cndmask_b32_e64 v90, 0, v90, s[16:17]
	ds_write_b128 v2, v[94:97] offset:512
	v_add3_u32 v2, v2, s0, v155
	v_cndmask_b32_e64 v89, 0, v89, s[18:19]
	v_cndmask_b32_e64 v88, 0, v88, s[18:19]
	v_cndmask_b32_e64 v87, 0, v87, s[18:19]
	v_cndmask_b32_e64 v86, 0, v86, s[18:19]
	ds_write_b128 v2, v[90:93] offset:512
	v_add3_u32 v2, v2, s0, v151
	v_cndmask_b32_e64 v85, 0, v85, s[20:21]
	v_cndmask_b32_e64 v84, 0, v84, s[20:21]
	v_cndmask_b32_e64 v83, 0, v83, s[20:21]
	v_cndmask_b32_e64 v82, 0, v82, s[20:21]
	buffer_load_dword v90, off, s[88:91], 0 offset:624 ; 4-byte Folded Reload
	buffer_load_dword v91, off, s[88:91], 0 offset:620 ; 4-byte Folded Reload
	ds_write_b128 v2, v[86:89] offset:512
	v_add3_u32 v2, v2, s0, v152
	ds_write_b128 v2, v[82:85] offset:512
	buffer_load_dword v82, off, s[88:91], 0 offset:628 ; 4-byte Folded Reload
	v_mov_b32_e32 v101, v48
	v_mov_b32_e32 v99, v49
	v_cndmask_b32_e64 v81, 0, v81, s[22:23]
	v_cndmask_b32_e64 v80, 0, v80, s[22:23]
	;; [unrolled: 1-line block ×4, first 2 shown]
	v_mov_b32_e32 v98, v254
	v_add3_u32 v2, v2, s0, v153
	ds_write_b128 v2, v[78:81] offset:512
	v_mov_b32_e32 v78, v46
	v_cndmask_b32_e64 v77, 0, v77, s[24:25]
	v_cndmask_b32_e64 v76, 0, v76, s[24:25]
	;; [unrolled: 1-line block ×4, first 2 shown]
	v_add3_u32 v2, v2, s0, v78
	ds_write_b128 v2, v[74:77] offset:512
	v_mov_b32_e32 v75, v0
	v_mov_b32_e32 v74, v47
	v_cndmask_b32_e64 v73, 0, v73, s[26:27]
	v_cndmask_b32_e64 v72, 0, v72, s[26:27]
	;; [unrolled: 1-line block ×8, first 2 shown]
	v_add3_u32 v2, v2, s0, v74
	ds_write_b128 v2, v[70:73] offset:512
	v_cndmask_b32_e64 v5, 0, v65, s[38:39]
	v_cndmask_b32_e64 v4, 0, v64, s[38:39]
	;; [unrolled: 1-line block ×18, first 2 shown]
	s_waitcnt vmcnt(3)
	v_add3_u32 v1, v1, v101, v100
	v_add3_u32 v1, v1, v99, v150
	;; [unrolled: 1-line block ×5, first 2 shown]
	v_cndmask_b32_e64 v19, 0, v35, s[40:41]
	v_cndmask_b32_e64 v18, 0, v34, s[40:41]
	;; [unrolled: 1-line block ×10, first 2 shown]
	s_waitcnt vmcnt(1)
	v_add3_u32 v1, v1, v91, v90
	s_waitcnt vmcnt(0)
	v_add3_u32 v1, v1, v157, v82
	v_add3_u32 v1, v1, v75, v156
	v_lshl_add_u32 v1, v1, 1, v154
	ds_write_b128 v1, v[66:69] offset:1024
	buffer_load_dword v30, off, s[88:91], 0 offset:280 ; 4-byte Folded Reload
	buffer_load_dword v31, off, s[88:91], 0 offset:284 ; 4-byte Folded Reload
	buffer_load_dword v32, off, s[88:91], 0 offset:288 ; 4-byte Folded Reload
	buffer_load_dword v33, off, s[88:91], 0 offset:292 ; 4-byte Folded Reload
	buffer_load_dword v34, off, s[88:91], 0 offset:264 ; 4-byte Folded Reload
	buffer_load_dword v35, off, s[88:91], 0 offset:268 ; 4-byte Folded Reload
	buffer_load_dword v36, off, s[88:91], 0 offset:272 ; 4-byte Folded Reload
	buffer_load_dword v37, off, s[88:91], 0 offset:276 ; 4-byte Folded Reload
	buffer_load_dword v38, off, s[88:91], 0 offset:248 ; 4-byte Folded Reload
	buffer_load_dword v39, off, s[88:91], 0 offset:252 ; 4-byte Folded Reload
	buffer_load_dword v40, off, s[88:91], 0 offset:256 ; 4-byte Folded Reload
	buffer_load_dword v41, off, s[88:91], 0 offset:260 ; 4-byte Folded Reload
	buffer_load_dword v42, off, s[88:91], 0 offset:232 ; 4-byte Folded Reload
	buffer_load_dword v43, off, s[88:91], 0 offset:236 ; 4-byte Folded Reload
	buffer_load_dword v44, off, s[88:91], 0 offset:240 ; 4-byte Folded Reload
	buffer_load_dword v45, off, s[88:91], 0 offset:244 ; 4-byte Folded Reload
	buffer_load_dword v46, off, s[88:91], 0 offset:216 ; 4-byte Folded Reload
	buffer_load_dword v47, off, s[88:91], 0 offset:220 ; 4-byte Folded Reload
	buffer_load_dword v48, off, s[88:91], 0 offset:224 ; 4-byte Folded Reload
	buffer_load_dword v49, off, s[88:91], 0 offset:228 ; 4-byte Folded Reload
	buffer_load_dword v50, off, s[88:91], 0 offset:200 ; 4-byte Folded Reload
	buffer_load_dword v51, off, s[88:91], 0 offset:204 ; 4-byte Folded Reload
	buffer_load_dword v52, off, s[88:91], 0 offset:208 ; 4-byte Folded Reload
	buffer_load_dword v53, off, s[88:91], 0 offset:212 ; 4-byte Folded Reload
	buffer_load_dword v54, off, s[88:91], 0 offset:184 ; 4-byte Folded Reload
	buffer_load_dword v55, off, s[88:91], 0 offset:188 ; 4-byte Folded Reload
	buffer_load_dword v56, off, s[88:91], 0 offset:192 ; 4-byte Folded Reload
	buffer_load_dword v57, off, s[88:91], 0 offset:196 ; 4-byte Folded Reload
	buffer_load_dword v58, off, s[88:91], 0 offset:168 ; 4-byte Folded Reload
	buffer_load_dword v59, off, s[88:91], 0 offset:172 ; 4-byte Folded Reload
	buffer_load_dword v60, off, s[88:91], 0 offset:176 ; 4-byte Folded Reload
	buffer_load_dword v61, off, s[88:91], 0 offset:180 ; 4-byte Folded Reload
	buffer_load_dword v62, off, s[88:91], 0 offset:152 ; 4-byte Folded Reload
	buffer_load_dword v63, off, s[88:91], 0 offset:156 ; 4-byte Folded Reload
	buffer_load_dword v64, off, s[88:91], 0 offset:160 ; 4-byte Folded Reload
	buffer_load_dword v65, off, s[88:91], 0 offset:164 ; 4-byte Folded Reload
	buffer_load_dword v0, off, s[88:91], 0  ; 4-byte Folded Reload
	v_add_u32_e32 v1, v148, v146
	ds_write_b128 v1, v[2:5] offset:512
	v_add3_u32 v1, v1, s0, v253
	ds_write_b128 v1, v[6:9] offset:512
	v_add3_u32 v1, v1, s0, v251
	;; [unrolled: 2-line block ×7, first 2 shown]
	s_waitcnt vmcnt(33)
	v_cndmask_b32_e64 v33, 0, v33, s[46:47]
	v_cndmask_b32_e64 v32, 0, v32, s[46:47]
	;; [unrolled: 1-line block ×4, first 2 shown]
	s_waitcnt vmcnt(29)
	v_cndmask_b32_e64 v37, 0, v37, s[48:49]
	v_cndmask_b32_e64 v36, 0, v36, s[48:49]
	;; [unrolled: 1-line block ×4, first 2 shown]
	ds_write_b128 v1, v[30:33] offset:512
	s_waitcnt vmcnt(0)
	v_add3_u32 v0, v0, v101, v100
	v_add3_u32 v0, v0, v99, v150
	;; [unrolled: 1-line block ×4, first 2 shown]
	v_cndmask_b32_e64 v41, 0, v41, s[50:51]
	v_cndmask_b32_e64 v40, 0, v40, s[50:51]
	v_cndmask_b32_e64 v39, 0, v39, s[50:51]
	v_cndmask_b32_e64 v38, 0, v38, s[50:51]
	v_add3_u32 v0, v0, v249, v230
	ds_write_b128 v1, v[34:37] offset:512
	v_add3_u32 v1, v1, s0, v155
	v_cndmask_b32_e64 v45, 0, v45, s[52:53]
	v_cndmask_b32_e64 v44, 0, v44, s[52:53]
	v_cndmask_b32_e64 v43, 0, v43, s[52:53]
	v_cndmask_b32_e64 v42, 0, v42, s[52:53]
	v_add3_u32 v0, v0, v98, v255
	ds_write_b128 v1, v[38:41] offset:512
	v_add3_u32 v1, v1, s0, v151
	;; [unrolled: 7-line block ×3, first 2 shown]
	v_cndmask_b32_e64 v53, 0, v53, s[56:57]
	v_cndmask_b32_e64 v52, 0, v52, s[56:57]
	;; [unrolled: 1-line block ×4, first 2 shown]
	ds_write_b128 v1, v[46:49] offset:512
	v_add3_u32 v0, v0, v157, v82
	v_add3_u32 v1, v1, s0, v153
	v_cndmask_b32_e64 v57, 0, v57, s[58:59]
	v_cndmask_b32_e64 v56, 0, v56, s[58:59]
	;; [unrolled: 1-line block ×4, first 2 shown]
	ds_write_b128 v1, v[50:53] offset:512
	v_add3_u32 v1, v1, s0, v78
	v_add3_u32 v0, v0, v75, v156
	v_cndmask_b32_e64 v61, 0, v61, s[60:61]
	v_cndmask_b32_e64 v60, 0, v60, s[60:61]
	;; [unrolled: 1-line block ×8, first 2 shown]
	ds_write_b128 v1, v[54:57] offset:512
	v_add3_u32 v1, v1, s0, v74
	v_lshl_add_u32 v0, v0, 1, v154
	ds_write_b128 v1, v[58:61] offset:512
	ds_write_b128 v0, v[62:65] offset:17408
	s_waitcnt lgkmcnt(0)
	; wave barrier
	ds_read_b128 v[42:45], v149
	ds_read_b128 v[46:49], v149 offset:16384
	buffer_load_dword v0, off, s[88:91], 0 offset:104 ; 4-byte Folded Reload
	s_waitcnt vmcnt(0)
	ds_read_b128 v[50:53], v0
	ds_read_b128 v[54:57], v0 offset:16384
	buffer_load_dword v0, off, s[88:91], 0 offset:108 ; 4-byte Folded Reload
	s_waitcnt vmcnt(0)
	;; [unrolled: 4-line block ×8, first 2 shown]
	ds_read_b128 v[82:85], v0 offset:8192
	ds_read_b128 v[86:89], v0 offset:24576
	buffer_load_dword v0, off, s[88:91], 0 offset:140 ; 4-byte Folded Reload
	s_waitcnt vmcnt(0)
	ds_read_b128 v[90:93], v0 offset:8192
	ds_read_b128 v[94:97], v0 offset:24576
	buffer_load_dword v0, off, s[88:91], 0 offset:136 ; 4-byte Folded Reload
	s_waitcnt vmcnt(0)
	ds_read_b128 v[98:101], v0 offset:8192
	ds_read_b128 v[102:105], v0 offset:24576
	buffer_load_dword v0, off, s[88:91], 0 offset:132 ; 4-byte Folded Reload
	s_waitcnt vmcnt(0)
	ds_read_b128 v[106:109], v0 offset:8192
	ds_read_b128 v[110:113], v0 offset:24576
	buffer_load_dword v0, off, s[88:91], 0 offset:128 ; 4-byte Folded Reload
	s_waitcnt vmcnt(0)
	ds_read_b128 v[114:117], v0 offset:8192
	ds_read_b128 v[118:121], v0 offset:24576
	buffer_load_dword v0, off, s[88:91], 0 offset:124 ; 4-byte Folded Reload
	s_waitcnt vmcnt(0)
	ds_read_b128 v[122:125], v0 offset:8192
	ds_read_b128 v[126:129], v0 offset:24576
	buffer_load_dword v0, off, s[88:91], 0 offset:120 ; 4-byte Folded Reload
	s_waitcnt vmcnt(0)
	ds_read_b128 v[26:29], v0 offset:8192
	ds_read_b128 v[30:33], v0 offset:24576
	buffer_load_dword v0, off, s[88:91], 0 offset:116 ; 4-byte Folded Reload
	s_waitcnt vmcnt(0)
	ds_read_b128 v[10:13], v0 offset:8192
	ds_read_b128 v[14:17], v0 offset:24576
	; sched_barrier mask(0x00000000)
	; wave barrier
	; sched_barrier mask(0x00000000)
	s_waitcnt lgkmcnt(14)
	v_mfma_f32_16x16x16f16 v[138:141], v[42:43], v[46:47], v[138:141]
	v_mfma_f32_16x16x16f16 v[138:141], v[44:45], v[48:49], v[138:141]
	; sched_barrier mask(0x00000000)
	s_setprio 1
	; sched_barrier mask(0x00000000)
	v_mfma_f32_16x16x16f16 v[130:133], v[42:43], v[86:87], v[130:133]
	v_mfma_f32_16x16x16f16 v[42:45], v[44:45], v[88:89], v[130:133]
	;; [unrolled: 1-line block ×7, first 2 shown]
	s_waitcnt lgkmcnt(12)
	v_mfma_f32_16x16x16f16 v[42:45], v[50:51], v[94:95], v[42:45]
	v_mfma_f32_16x16x16f16 v[86:89], v[52:53], v[56:57], v[86:89]
	v_mfma_f32_16x16x16f16 v[42:45], v[52:53], v[96:97], v[42:45]
	v_mfma_f32_16x16x16f16 v[46:49], v[90:91], v[54:55], v[46:49]
	v_mfma_f32_16x16x16f16 v[46:49], v[92:93], v[56:57], v[46:49]
	v_mfma_f32_16x16x16f16 v[50:53], v[90:91], v[94:95], v[82:85]
	v_mfma_f32_16x16x16f16 v[54:57], v[58:59], v[62:63], v[86:89]
	s_waitcnt lgkmcnt(10)
	v_mfma_f32_16x16x16f16 v[42:45], v[58:59], v[102:103], v[42:45]
	v_mfma_f32_16x16x16f16 v[50:53], v[92:93], v[96:97], v[50:53]
	v_mfma_f32_16x16x16f16 v[54:57], v[60:61], v[64:65], v[54:57]
	v_mfma_f32_16x16x16f16 v[42:45], v[60:61], v[104:105], v[42:45]
	v_mfma_f32_16x16x16f16 v[46:49], v[98:99], v[62:63], v[46:49]
	v_mfma_f32_16x16x16f16 v[46:49], v[100:101], v[64:65], v[46:49]
	v_mfma_f32_16x16x16f16 v[50:53], v[98:99], v[102:103], v[50:53]
	v_mfma_f32_16x16x16f16 v[54:57], v[66:67], v[70:71], v[54:57]
	s_waitcnt lgkmcnt(8)
	v_mfma_f32_16x16x16f16 v[42:45], v[66:67], v[110:111], v[42:45]
	;; [unrolled: 9-line block ×4, first 2 shown]
	v_mfma_f32_16x16x16f16 v[50:53], v[116:117], v[120:121], v[50:53]
	v_mfma_f32_16x16x16f16 v[54:57], v[40:41], v[36:37], v[54:57]
	;; [unrolled: 1-line block ×8, first 2 shown]
	s_waitcnt lgkmcnt(2)
	v_mfma_f32_16x16x16f16 v[38:41], v[22:23], v[30:31], v[38:41]
	v_mfma_f32_16x16x16f16 v[34:37], v[26:27], v[18:19], v[34:37]
	;; [unrolled: 1-line block ×8, first 2 shown]
	s_waitcnt lgkmcnt(0)
	v_mfma_f32_16x16x16f16 v[22:25], v[6:7], v[14:15], v[22:25]
	v_mfma_f32_16x16x16f16 v[0:3], v[10:11], v[2:3], v[18:21]
	;; [unrolled: 1-line block ×5, first 2 shown]
	; sched_barrier mask(0x00000000)
	s_waitcnt lgkmcnt(0)
	; wave barrier
	; sched_barrier mask(0x00000000)
	v_mfma_f32_16x16x16f16 v[18:21], v[10:11], v[14:15], v[26:29]
	v_mfma_f32_16x16x16f16 v[10:13], v[12:13], v[16:17], v[18:21]
	; sched_barrier mask(0x00000000)
	s_setprio 0
	; sched_barrier mask(0x00000000)
	buffer_load_dword v4, off, s[88:91], 0 offset:768 ; 4-byte Folded Reload
	buffer_load_dword v5, off, s[88:91], 0 offset:776 ; 4-byte Folded Reload
	s_nop 6
	v_cvt_f16_f32_e32 v20, v32
	v_cvt_f16_f32_e32 v21, v33
	s_add_i32 s2, s65, s67
	s_lshl_b32 s74, s2, 1
	s_mov_b32 s75, 0x20000
	v_cvt_f16_f32_e32 v0, v0
	s_lshl_b32 s4, s69, 4
	v_cvt_f16_f32_e32 v1, v1
	v_cvt_f16_f32_e32 v2, v2
	;; [unrolled: 1-line block ×3, first 2 shown]
	s_waitcnt vmcnt(1)
	v_lshrrev_b32_e32 v16, 2, v4
	s_waitcnt vmcnt(0)
	v_and_or_b32 v5, v4, 15, v5
	buffer_load_dword v4, off, s[88:91], 0 offset:772 ; 4-byte Folded Reload
	v_lshl_or_b32 v18, s33, 5, v16
	v_lshlrev_b32_e32 v19, 1, v5
	s_waitcnt lgkmcnt(0)
	; wave barrier
	s_waitcnt vmcnt(0)
	v_and_b32_e32 v17, 12, v4
	v_or_b32_e32 v4, s66, v17
	v_mad_u64_u32 v[14:15], s[0:1], v18, s69, v[4:5]
	v_cvt_f16_f32_e32 v15, v30
	v_cvt_f16_f32_e32 v5, v31
	ds_write_b16 v19, v15
	ds_write_b16 v19, v5 offset:32
	ds_write_b16 v19, v20 offset:64
	;; [unrolled: 1-line block ×3, first 2 shown]
	v_lshlrev_b32_e32 v5, 1, v17
	v_lshl_or_b32 v15, v16, 5, v5
	s_waitcnt lgkmcnt(0)
	; wave barrier
	ds_read_b64 v[16:17], v15
	v_cmp_gt_i32_e32 vcc, s65, v4
	v_cmp_gt_i32_e64 s[0:1], s64, v18
	v_bfrev_b32_e32 v20, 1
	s_and_b64 s[2:3], s[0:1], vcc
	v_cndmask_b32_e64 v5, v20, 0, s[2:3]
	v_lshl_add_u32 v5, v14, 1, v5
	s_waitcnt lgkmcnt(0)
	buffer_atomic_pk_add_f16 v16, v5, s[72:75], 0 offen
	buffer_atomic_pk_add_f16 v17, v5, s[72:75], 4 offen
	v_or_b32_e32 v16, 16, v4
	v_cvt_f16_f32_e32 v4, v6
	v_cvt_f16_f32_e32 v5, v7
	;; [unrolled: 1-line block ×4, first 2 shown]
	s_waitcnt lgkmcnt(0)
	; wave barrier
	ds_write_b16 v19, v4
	ds_write_b16 v19, v5 offset:32
	ds_write_b16 v19, v6 offset:64
	ds_write_b16 v19, v7 offset:96
	s_waitcnt lgkmcnt(0)
	; wave barrier
	ds_read_b64 v[4:5], v15
	v_cmp_gt_i32_e64 s[2:3], s65, v16
	s_and_b64 s[0:1], s[0:1], s[2:3]
	v_add_u32_e32 v17, 16, v14
	v_cndmask_b32_e64 v6, v20, 0, s[0:1]
	v_lshl_add_u32 v6, v17, 1, v6
	s_waitcnt lgkmcnt(0)
	buffer_atomic_pk_add_f16 v4, v6, s[72:75], 0 offen
	buffer_atomic_pk_add_f16 v5, v6, s[72:75], 4 offen
	v_cvt_f16_f32_e32 v4, v10
	v_cvt_f16_f32_e32 v5, v11
	;; [unrolled: 1-line block ×4, first 2 shown]
	v_or_b32_e32 v6, 16, v18
	s_waitcnt lgkmcnt(0)
	; wave barrier
	ds_write_b16 v19, v4
	ds_write_b16 v19, v5 offset:32
	ds_write_b16 v19, v8 offset:64
	;; [unrolled: 1-line block ×3, first 2 shown]
	s_waitcnt lgkmcnt(0)
	; wave barrier
	ds_read_b64 v[4:5], v15
	v_cmp_gt_i32_e64 s[0:1], s64, v6
	s_and_b64 s[2:3], s[0:1], s[2:3]
	v_add_u32_e32 v7, s4, v17
	v_cndmask_b32_e64 v6, v20, 0, s[2:3]
	v_lshl_add_u32 v6, v7, 1, v6
	s_waitcnt lgkmcnt(0)
	buffer_atomic_pk_add_f16 v4, v6, s[72:75], 0 offen
	buffer_atomic_pk_add_f16 v5, v6, s[72:75], 4 offen
	s_waitcnt lgkmcnt(0)
	; wave barrier
	ds_write_b16 v19, v0
	ds_write_b16 v19, v1 offset:32
	ds_write_b16 v19, v2 offset:64
	;; [unrolled: 1-line block ×3, first 2 shown]
	s_waitcnt lgkmcnt(0)
	; wave barrier
	ds_read_b64 v[0:1], v15
	s_and_b64 s[0:1], vcc, s[0:1]
	v_add_u32_e32 v2, s4, v14
	v_cndmask_b32_e64 v3, v20, 0, s[0:1]
	v_lshl_add_u32 v2, v2, 1, v3
	s_waitcnt lgkmcnt(0)
	buffer_atomic_pk_add_f16 v0, v2, s[72:75], 0 offen
	buffer_atomic_pk_add_f16 v1, v2, s[72:75], 4 offen
	s_endpgm
	.section	.rodata,"a",@progbits
	.p2align	6, 0x0
	.amdhsa_kernel _ZN2ck27kernel_gemm_xdl_cshuffle_v3INS_28GridwiseGemm_xdl_cshuffle_v3INS_13tensor_layout4gemm8RowMajorENS3_11ColumnMajorES4_DF16_DF16_fDF16_DF16_NS_16tensor_operation12element_wise11PassThroughES8_S8_LNS6_6device18GemmSpecializationE4ELi64ELi32ELi32ELi256ELi8ELi8ELi16ELi16ELi2ELi2ENS_8SequenceIJLi32ELi2ELi1EEEENSB_IJLi1ELi0ELi2EEEESD_Li2ELi8ELi8ELb0ELi0ESC_SD_SD_Li2ELi8ELi8ELb0ELi0ELi1ELi1ENSB_IJLi1ELi16ELi1ELi4EEEELi4ELNS_26BlockGemmPipelineSchedulerE1ELNS_24BlockGemmPipelineVersionE1EDF16_DF16_Lb0ELb0ELb0ELi0ELb0EEELb1ELNS_25InMemoryDataOperationEnumE1ELi2ELNS_10TailNumberE10EEEvNT_8ArgumentE
		.amdhsa_group_segment_fixed_size 32768
		.amdhsa_private_segment_fixed_size 784
		.amdhsa_kernarg_size 112
		.amdhsa_user_sgpr_count 6
		.amdhsa_user_sgpr_private_segment_buffer 1
		.amdhsa_user_sgpr_dispatch_ptr 0
		.amdhsa_user_sgpr_queue_ptr 0
		.amdhsa_user_sgpr_kernarg_segment_ptr 1
		.amdhsa_user_sgpr_dispatch_id 0
		.amdhsa_user_sgpr_flat_scratch_init 0
		.amdhsa_user_sgpr_kernarg_preload_length 0
		.amdhsa_user_sgpr_kernarg_preload_offset 0
		.amdhsa_user_sgpr_private_segment_size 0
		.amdhsa_uses_dynamic_stack 0
		.amdhsa_system_sgpr_private_segment_wavefront_offset 1
		.amdhsa_system_sgpr_workgroup_id_x 1
		.amdhsa_system_sgpr_workgroup_id_y 0
		.amdhsa_system_sgpr_workgroup_id_z 1
		.amdhsa_system_sgpr_workgroup_info 0
		.amdhsa_system_vgpr_workitem_id 0
		.amdhsa_next_free_vgpr 256
		.amdhsa_next_free_sgpr 92
		.amdhsa_accum_offset 256
		.amdhsa_reserve_vcc 1
		.amdhsa_reserve_flat_scratch 0
		.amdhsa_float_round_mode_32 0
		.amdhsa_float_round_mode_16_64 0
		.amdhsa_float_denorm_mode_32 3
		.amdhsa_float_denorm_mode_16_64 3
		.amdhsa_dx10_clamp 1
		.amdhsa_ieee_mode 1
		.amdhsa_fp16_overflow 0
		.amdhsa_tg_split 0
		.amdhsa_exception_fp_ieee_invalid_op 0
		.amdhsa_exception_fp_denorm_src 0
		.amdhsa_exception_fp_ieee_div_zero 0
		.amdhsa_exception_fp_ieee_overflow 0
		.amdhsa_exception_fp_ieee_underflow 0
		.amdhsa_exception_fp_ieee_inexact 0
		.amdhsa_exception_int_div_zero 0
	.end_amdhsa_kernel
	.section	.text._ZN2ck27kernel_gemm_xdl_cshuffle_v3INS_28GridwiseGemm_xdl_cshuffle_v3INS_13tensor_layout4gemm8RowMajorENS3_11ColumnMajorES4_DF16_DF16_fDF16_DF16_NS_16tensor_operation12element_wise11PassThroughES8_S8_LNS6_6device18GemmSpecializationE4ELi64ELi32ELi32ELi256ELi8ELi8ELi16ELi16ELi2ELi2ENS_8SequenceIJLi32ELi2ELi1EEEENSB_IJLi1ELi0ELi2EEEESD_Li2ELi8ELi8ELb0ELi0ESC_SD_SD_Li2ELi8ELi8ELb0ELi0ELi1ELi1ENSB_IJLi1ELi16ELi1ELi4EEEELi4ELNS_26BlockGemmPipelineSchedulerE1ELNS_24BlockGemmPipelineVersionE1EDF16_DF16_Lb0ELb0ELb0ELi0ELb0EEELb1ELNS_25InMemoryDataOperationEnumE1ELi2ELNS_10TailNumberE10EEEvNT_8ArgumentE,"axG",@progbits,_ZN2ck27kernel_gemm_xdl_cshuffle_v3INS_28GridwiseGemm_xdl_cshuffle_v3INS_13tensor_layout4gemm8RowMajorENS3_11ColumnMajorES4_DF16_DF16_fDF16_DF16_NS_16tensor_operation12element_wise11PassThroughES8_S8_LNS6_6device18GemmSpecializationE4ELi64ELi32ELi32ELi256ELi8ELi8ELi16ELi16ELi2ELi2ENS_8SequenceIJLi32ELi2ELi1EEEENSB_IJLi1ELi0ELi2EEEESD_Li2ELi8ELi8ELb0ELi0ESC_SD_SD_Li2ELi8ELi8ELb0ELi0ELi1ELi1ENSB_IJLi1ELi16ELi1ELi4EEEELi4ELNS_26BlockGemmPipelineSchedulerE1ELNS_24BlockGemmPipelineVersionE1EDF16_DF16_Lb0ELb0ELb0ELi0ELb0EEELb1ELNS_25InMemoryDataOperationEnumE1ELi2ELNS_10TailNumberE10EEEvNT_8ArgumentE,comdat
.Lfunc_end2:
	.size	_ZN2ck27kernel_gemm_xdl_cshuffle_v3INS_28GridwiseGemm_xdl_cshuffle_v3INS_13tensor_layout4gemm8RowMajorENS3_11ColumnMajorES4_DF16_DF16_fDF16_DF16_NS_16tensor_operation12element_wise11PassThroughES8_S8_LNS6_6device18GemmSpecializationE4ELi64ELi32ELi32ELi256ELi8ELi8ELi16ELi16ELi2ELi2ENS_8SequenceIJLi32ELi2ELi1EEEENSB_IJLi1ELi0ELi2EEEESD_Li2ELi8ELi8ELb0ELi0ESC_SD_SD_Li2ELi8ELi8ELb0ELi0ELi1ELi1ENSB_IJLi1ELi16ELi1ELi4EEEELi4ELNS_26BlockGemmPipelineSchedulerE1ELNS_24BlockGemmPipelineVersionE1EDF16_DF16_Lb0ELb0ELb0ELi0ELb0EEELb1ELNS_25InMemoryDataOperationEnumE1ELi2ELNS_10TailNumberE10EEEvNT_8ArgumentE, .Lfunc_end2-_ZN2ck27kernel_gemm_xdl_cshuffle_v3INS_28GridwiseGemm_xdl_cshuffle_v3INS_13tensor_layout4gemm8RowMajorENS3_11ColumnMajorES4_DF16_DF16_fDF16_DF16_NS_16tensor_operation12element_wise11PassThroughES8_S8_LNS6_6device18GemmSpecializationE4ELi64ELi32ELi32ELi256ELi8ELi8ELi16ELi16ELi2ELi2ENS_8SequenceIJLi32ELi2ELi1EEEENSB_IJLi1ELi0ELi2EEEESD_Li2ELi8ELi8ELb0ELi0ESC_SD_SD_Li2ELi8ELi8ELb0ELi0ELi1ELi1ENSB_IJLi1ELi16ELi1ELi4EEEELi4ELNS_26BlockGemmPipelineSchedulerE1ELNS_24BlockGemmPipelineVersionE1EDF16_DF16_Lb0ELb0ELb0ELi0ELb0EEELb1ELNS_25InMemoryDataOperationEnumE1ELi2ELNS_10TailNumberE10EEEvNT_8ArgumentE
                                        ; -- End function
	.section	.AMDGPU.csdata,"",@progbits
; Kernel info:
; codeLenInByte = 21860
; NumSgprs: 96
; NumVgprs: 256
; NumAgprs: 0
; TotalNumVgprs: 256
; ScratchSize: 784
; MemoryBound: 0
; FloatMode: 240
; IeeeMode: 1
; LDSByteSize: 32768 bytes/workgroup (compile time only)
; SGPRBlocks: 11
; VGPRBlocks: 31
; NumSGPRsForWavesPerEU: 96
; NumVGPRsForWavesPerEU: 256
; AccumOffset: 256
; Occupancy: 1
; WaveLimiterHint : 0
; COMPUTE_PGM_RSRC2:SCRATCH_EN: 1
; COMPUTE_PGM_RSRC2:USER_SGPR: 6
; COMPUTE_PGM_RSRC2:TRAP_HANDLER: 0
; COMPUTE_PGM_RSRC2:TGID_X_EN: 1
; COMPUTE_PGM_RSRC2:TGID_Y_EN: 0
; COMPUTE_PGM_RSRC2:TGID_Z_EN: 1
; COMPUTE_PGM_RSRC2:TIDIG_COMP_CNT: 0
; COMPUTE_PGM_RSRC3_GFX90A:ACCUM_OFFSET: 63
; COMPUTE_PGM_RSRC3_GFX90A:TG_SPLIT: 0
	.section	.text._ZN2ck27kernel_gemm_xdl_cshuffle_v3INS_28GridwiseGemm_xdl_cshuffle_v3INS_13tensor_layout4gemm8RowMajorENS3_11ColumnMajorES4_DF16_DF16_fDF16_DF16_NS_16tensor_operation12element_wise11PassThroughES8_S8_LNS6_6device18GemmSpecializationE4ELi64ELi32ELi32ELi256ELi8ELi8ELi16ELi16ELi2ELi2ENS_8SequenceIJLi32ELi2ELi1EEEENSB_IJLi1ELi0ELi2EEEESD_Li2ELi8ELi8ELb0ELi0ESC_SD_SD_Li2ELi8ELi8ELb0ELi0ELi1ELi1ENSB_IJLi1ELi16ELi1ELi4EEEELi4ELNS_26BlockGemmPipelineSchedulerE1ELNS_24BlockGemmPipelineVersionE1EDF16_DF16_Lb0ELb0ELb0ELi0ELb0EEELb1ELNS_25InMemoryDataOperationEnumE0ELi2ELNS_10TailNumberE2EEEvNT_8ArgumentE,"axG",@progbits,_ZN2ck27kernel_gemm_xdl_cshuffle_v3INS_28GridwiseGemm_xdl_cshuffle_v3INS_13tensor_layout4gemm8RowMajorENS3_11ColumnMajorES4_DF16_DF16_fDF16_DF16_NS_16tensor_operation12element_wise11PassThroughES8_S8_LNS6_6device18GemmSpecializationE4ELi64ELi32ELi32ELi256ELi8ELi8ELi16ELi16ELi2ELi2ENS_8SequenceIJLi32ELi2ELi1EEEENSB_IJLi1ELi0ELi2EEEESD_Li2ELi8ELi8ELb0ELi0ESC_SD_SD_Li2ELi8ELi8ELb0ELi0ELi1ELi1ENSB_IJLi1ELi16ELi1ELi4EEEELi4ELNS_26BlockGemmPipelineSchedulerE1ELNS_24BlockGemmPipelineVersionE1EDF16_DF16_Lb0ELb0ELb0ELi0ELb0EEELb1ELNS_25InMemoryDataOperationEnumE0ELi2ELNS_10TailNumberE2EEEvNT_8ArgumentE,comdat
	.protected	_ZN2ck27kernel_gemm_xdl_cshuffle_v3INS_28GridwiseGemm_xdl_cshuffle_v3INS_13tensor_layout4gemm8RowMajorENS3_11ColumnMajorES4_DF16_DF16_fDF16_DF16_NS_16tensor_operation12element_wise11PassThroughES8_S8_LNS6_6device18GemmSpecializationE4ELi64ELi32ELi32ELi256ELi8ELi8ELi16ELi16ELi2ELi2ENS_8SequenceIJLi32ELi2ELi1EEEENSB_IJLi1ELi0ELi2EEEESD_Li2ELi8ELi8ELb0ELi0ESC_SD_SD_Li2ELi8ELi8ELb0ELi0ELi1ELi1ENSB_IJLi1ELi16ELi1ELi4EEEELi4ELNS_26BlockGemmPipelineSchedulerE1ELNS_24BlockGemmPipelineVersionE1EDF16_DF16_Lb0ELb0ELb0ELi0ELb0EEELb1ELNS_25InMemoryDataOperationEnumE0ELi2ELNS_10TailNumberE2EEEvNT_8ArgumentE ; -- Begin function _ZN2ck27kernel_gemm_xdl_cshuffle_v3INS_28GridwiseGemm_xdl_cshuffle_v3INS_13tensor_layout4gemm8RowMajorENS3_11ColumnMajorES4_DF16_DF16_fDF16_DF16_NS_16tensor_operation12element_wise11PassThroughES8_S8_LNS6_6device18GemmSpecializationE4ELi64ELi32ELi32ELi256ELi8ELi8ELi16ELi16ELi2ELi2ENS_8SequenceIJLi32ELi2ELi1EEEENSB_IJLi1ELi0ELi2EEEESD_Li2ELi8ELi8ELb0ELi0ESC_SD_SD_Li2ELi8ELi8ELb0ELi0ELi1ELi1ENSB_IJLi1ELi16ELi1ELi4EEEELi4ELNS_26BlockGemmPipelineSchedulerE1ELNS_24BlockGemmPipelineVersionE1EDF16_DF16_Lb0ELb0ELb0ELi0ELb0EEELb1ELNS_25InMemoryDataOperationEnumE0ELi2ELNS_10TailNumberE2EEEvNT_8ArgumentE
	.globl	_ZN2ck27kernel_gemm_xdl_cshuffle_v3INS_28GridwiseGemm_xdl_cshuffle_v3INS_13tensor_layout4gemm8RowMajorENS3_11ColumnMajorES4_DF16_DF16_fDF16_DF16_NS_16tensor_operation12element_wise11PassThroughES8_S8_LNS6_6device18GemmSpecializationE4ELi64ELi32ELi32ELi256ELi8ELi8ELi16ELi16ELi2ELi2ENS_8SequenceIJLi32ELi2ELi1EEEENSB_IJLi1ELi0ELi2EEEESD_Li2ELi8ELi8ELb0ELi0ESC_SD_SD_Li2ELi8ELi8ELb0ELi0ELi1ELi1ENSB_IJLi1ELi16ELi1ELi4EEEELi4ELNS_26BlockGemmPipelineSchedulerE1ELNS_24BlockGemmPipelineVersionE1EDF16_DF16_Lb0ELb0ELb0ELi0ELb0EEELb1ELNS_25InMemoryDataOperationEnumE0ELi2ELNS_10TailNumberE2EEEvNT_8ArgumentE
	.p2align	8
	.type	_ZN2ck27kernel_gemm_xdl_cshuffle_v3INS_28GridwiseGemm_xdl_cshuffle_v3INS_13tensor_layout4gemm8RowMajorENS3_11ColumnMajorES4_DF16_DF16_fDF16_DF16_NS_16tensor_operation12element_wise11PassThroughES8_S8_LNS6_6device18GemmSpecializationE4ELi64ELi32ELi32ELi256ELi8ELi8ELi16ELi16ELi2ELi2ENS_8SequenceIJLi32ELi2ELi1EEEENSB_IJLi1ELi0ELi2EEEESD_Li2ELi8ELi8ELb0ELi0ESC_SD_SD_Li2ELi8ELi8ELb0ELi0ELi1ELi1ENSB_IJLi1ELi16ELi1ELi4EEEELi4ELNS_26BlockGemmPipelineSchedulerE1ELNS_24BlockGemmPipelineVersionE1EDF16_DF16_Lb0ELb0ELb0ELi0ELb0EEELb1ELNS_25InMemoryDataOperationEnumE0ELi2ELNS_10TailNumberE2EEEvNT_8ArgumentE,@function
_ZN2ck27kernel_gemm_xdl_cshuffle_v3INS_28GridwiseGemm_xdl_cshuffle_v3INS_13tensor_layout4gemm8RowMajorENS3_11ColumnMajorES4_DF16_DF16_fDF16_DF16_NS_16tensor_operation12element_wise11PassThroughES8_S8_LNS6_6device18GemmSpecializationE4ELi64ELi32ELi32ELi256ELi8ELi8ELi16ELi16ELi2ELi2ENS_8SequenceIJLi32ELi2ELi1EEEENSB_IJLi1ELi0ELi2EEEESD_Li2ELi8ELi8ELb0ELi0ESC_SD_SD_Li2ELi8ELi8ELb0ELi0ELi1ELi1ENSB_IJLi1ELi16ELi1ELi4EEEELi4ELNS_26BlockGemmPipelineSchedulerE1ELNS_24BlockGemmPipelineVersionE1EDF16_DF16_Lb0ELb0ELb0ELi0ELb0EEELb1ELNS_25InMemoryDataOperationEnumE0ELi2ELNS_10TailNumberE2EEEvNT_8ArgumentE: ; @_ZN2ck27kernel_gemm_xdl_cshuffle_v3INS_28GridwiseGemm_xdl_cshuffle_v3INS_13tensor_layout4gemm8RowMajorENS3_11ColumnMajorES4_DF16_DF16_fDF16_DF16_NS_16tensor_operation12element_wise11PassThroughES8_S8_LNS6_6device18GemmSpecializationE4ELi64ELi32ELi32ELi256ELi8ELi8ELi16ELi16ELi2ELi2ENS_8SequenceIJLi32ELi2ELi1EEEENSB_IJLi1ELi0ELi2EEEESD_Li2ELi8ELi8ELb0ELi0ESC_SD_SD_Li2ELi8ELi8ELb0ELi0ELi1ELi1ENSB_IJLi1ELi16ELi1ELi4EEEELi4ELNS_26BlockGemmPipelineSchedulerE1ELNS_24BlockGemmPipelineVersionE1EDF16_DF16_Lb0ELb0ELb0ELi0ELb0EEELb1ELNS_25InMemoryDataOperationEnumE0ELi2ELNS_10TailNumberE2EEEvNT_8ArgumentE
; %bb.0:
	s_mov_b64 s[90:91], s[2:3]
	s_mov_b64 s[88:89], s[0:1]
	s_add_u32 s88, s88, s8
	s_load_dwordx8 s[64:71], s[4:5], 0x10
	s_load_dword s10, s[4:5], 0x68
	s_load_dwordx2 s[80:81], s[4:5], 0x60
	s_load_dwordx4 s[0:3], s[4:5], 0x50
	s_addc_u32 s89, s89, 0
	s_waitcnt lgkmcnt(0)
	s_cmp_gt_i32 s70, 1
	s_cselect_b64 s[8:9], -1, 0
	s_bitcmp1_b32 s10, 0
	s_cselect_b64 s[10:11], -1, 0
	s_and_b64 s[8:9], s[8:9], s[10:11]
	v_mov_b32_e32 v172, v0
	s_andn2_b64 vcc, exec, s[8:9]
	s_mov_b64 s[82:83], 0
	s_cbranch_vccnz .LBB3_2
; %bb.1:
	s_mul_i32 s8, s64, s7
	s_mul_i32 s82, s8, s65
	s_ashr_i32 s83, s82, 31
.LBB3_2:
	s_load_dword s9, s[4:5], 0x34
	s_load_dword s8, s[4:5], 0x3c
	s_add_i32 s4, s64, -1
	s_cmp_lt_u32 s4, 32
	s_mov_b32 s71, 0
	s_cbranch_scc1 .LBB3_6
; %bb.3:
	s_add_i32 s4, s65, -1
	s_cmp_lt_u32 s4, 32
	s_mov_b32 s4, 0
	s_cbranch_scc1 .LBB3_10
; %bb.4:
	s_add_i32 s4, s64, 31
	s_ashr_i32 s5, s4, 31
	s_lshr_b32 s5, s5, 27
	s_add_i32 s4, s4, s5
	s_ashr_i32 s11, s4, 5
	s_add_i32 s4, s65, 31
	s_ashr_i32 s5, s4, 31
	s_lshr_b32 s5, s5, 27
	s_add_i32 s4, s4, s5
	s_ashr_i32 s10, s4, 5
	s_mul_i32 s4, s10, s11
	s_add_i32 s5, s4, 7
	s_ashr_i32 s12, s5, 31
	s_lshr_b32 s12, s12, 29
	s_add_i32 s5, s5, s12
	s_ashr_i32 s12, s5, 3
	s_and_b32 s5, s5, -8
	s_sub_i32 s13, s4, s5
	s_ashr_i32 s4, s6, 31
	s_lshr_b32 s4, s4, 29
	s_add_i32 s15, s6, s4
	s_and_b32 s4, s15, -8
	s_add_i32 s13, s13, 8
	s_sub_i32 s14, s6, s4
	s_cmp_gt_i32 s14, s13
	s_cbranch_scc1 .LBB3_7
; %bb.5:
	s_mul_i32 s6, s12, s14
	s_ashr_i32 s4, s15, 3
	s_cbranch_execz .LBB3_8
	s_branch .LBB3_9
.LBB3_6:
	s_mov_b32 s33, 0
	s_branch .LBB3_11
.LBB3_7:
                                        ; implicit-def: $sgpr6
	s_ashr_i32 s4, s15, 3
.LBB3_8:
	s_add_i32 s5, s12, -1
	s_mul_i32 s5, s5, s14
	s_add_i32 s6, s13, s5
.LBB3_9:
	s_abs_i32 s5, s10
	v_cvt_f32_u32_e32 v0, s5
	s_sub_i32 s13, 0, s5
	s_add_i32 s4, s6, s4
	s_abs_i32 s12, s4
	v_rcp_iflag_f32_e32 v0, v0
	s_xor_b32 s6, s4, s10
	s_ashr_i32 s6, s6, 31
	v_mul_f32_e32 v0, 0x4f7ffffe, v0
	v_cvt_u32_f32_e32 v0, v0
	v_readfirstlane_b32 s14, v0
	s_mul_i32 s13, s13, s14
	s_mul_hi_u32 s13, s14, s13
	s_add_i32 s14, s14, s13
	s_mul_hi_u32 s13, s12, s14
	s_mul_i32 s14, s13, s5
	s_sub_i32 s12, s12, s14
	s_add_i32 s15, s13, 1
	s_sub_i32 s14, s12, s5
	s_cmp_ge_u32 s12, s5
	s_cselect_b32 s13, s15, s13
	s_cselect_b32 s12, s14, s12
	s_add_i32 s14, s13, 1
	s_cmp_ge_u32 s12, s5
	s_cselect_b32 s5, s14, s13
	s_xor_b32 s5, s5, s6
	s_lshr_b32 s12, s11, 30
	s_sub_i32 s5, s5, s6
	s_add_i32 s12, s11, s12
	s_mul_i32 s6, s5, s10
	s_sub_i32 s4, s4, s6
	s_and_b32 s6, s12, -4
	s_sub_i32 s11, s11, s6
	s_cmp_ge_i32 s5, s6
	s_cselect_b32 s6, s11, 4
	s_abs_i32 s12, s6
	v_cvt_f32_u32_e32 v0, s12
	s_ashr_i32 s11, s5, 31
	s_lshr_b32 s11, s11, 30
	s_add_i32 s11, s5, s11
	v_rcp_iflag_f32_e32 v0, v0
	s_and_b32 s11, s11, -4
	s_sub_i32 s11, s5, s11
	s_sub_i32 s14, 0, s12
	v_mul_f32_e32 v0, 0x4f7ffffe, v0
	v_cvt_u32_f32_e32 v0, v0
	s_mul_i32 s10, s11, s10
	s_add_i32 s10, s10, s4
	s_abs_i32 s13, s10
	v_readfirstlane_b32 s15, v0
	s_mul_i32 s14, s14, s15
	s_mul_hi_u32 s14, s15, s14
	s_add_i32 s15, s15, s14
	s_mul_hi_u32 s14, s13, s15
	s_mul_i32 s15, s14, s12
	s_xor_b32 s4, s10, s6
	s_sub_i32 s13, s13, s15
	s_ashr_i32 s4, s4, 31
	s_add_i32 s15, s14, 1
	s_sub_i32 s16, s13, s12
	s_cmp_ge_u32 s13, s12
	s_cselect_b32 s14, s15, s14
	s_cselect_b32 s13, s16, s13
	s_add_i32 s15, s14, 1
	s_cmp_ge_u32 s13, s12
	s_cselect_b32 s12, s15, s14
	s_xor_b32 s12, s12, s4
	s_sub_i32 s4, s12, s4
	s_mul_i32 s6, s4, s6
	s_sub_i32 s6, s10, s6
	s_add_i32 s6, s6, s5
	s_sub_i32 s6, s6, s11
.LBB3_10:
	s_mov_b32 s33, s6
	s_mov_b32 s6, s4
.LBB3_11:
	s_waitcnt lgkmcnt(0)
	s_mul_i32 s4, s9, s7
	s_ashr_i32 s5, s4, 31
	s_lshl_b64 s[4:5], s[4:5], 1
	s_add_u32 s72, s0, s4
	s_addc_u32 s73, s1, s5
	s_add_u32 s76, s2, s4
	s_addc_u32 s77, s3, s5
	s_add_u32 s84, 0, 0
	s_addc_u32 s85, s64, -1
	s_add_u32 s1, 0, 0
	s_addc_u32 s1, s65, 0x7fffffff
	s_add_i32 s2, s70, -1
	s_mul_i32 s3, s2, s9
	s_sub_i32 s3, s66, s3
	s_cmp_lt_u32 s7, s2
	v_lshrrev_b32_e32 v166, 1, v172
	s_cselect_b32 s2, s9, s3
	s_lshl_b32 s3, s33, 5
	v_and_b32_e32 v136, 16, v166
	v_and_b32_e32 v1, 31, v172
	v_add_u32_e32 v167, s3, v136
	s_mul_i32 s0, s85, s67
	v_lshlrev_b32_e32 v2, 3, v1
	v_mul_lo_u32 v110, v167, s67
	v_lshlrev_b32_e32 v4, 2, v172
	v_add_u32_e32 v3, v110, v2
	buffer_store_dword v4, off, s[88:91], 0 offset:696 ; 4-byte Folded Spill
	v_and_b32_e32 v4, 0xc0, v4
	s_add_i32 s0, s2, s0
	buffer_store_dword v4, off, s[88:91], 0 offset:700 ; 4-byte Folded Spill
	v_lshrrev_b32_e32 v144, 3, v4
	s_lshl_b32 s74, s0, 1
	s_mov_b32 s75, 0x20000
	v_lshlrev_b32_e32 v4, 1, v3
	v_add_u32_e32 v3, s67, v3
	v_lshlrev_b32_e32 v5, 1, v3
	buffer_load_dwordx4 v[66:69], v4, s[72:75], 0 offen
	buffer_load_dwordx4 v[70:73], v5, s[72:75], 0 offen
	v_add_u32_e32 v3, s67, v3
	v_lshlrev_b32_e32 v4, 1, v3
	v_add_u32_e32 v3, s67, v3
	v_lshlrev_b32_e32 v5, 1, v3
	buffer_load_dwordx4 v[74:77], v4, s[72:75], 0 offen
	buffer_load_dwordx4 v[78:81], v5, s[72:75], 0 offen
	v_add_u32_e32 v3, s67, v3
	;; [unrolled: 6-line block ×6, first 2 shown]
	v_lshlrev_b32_e32 v4, 1, v3
	v_add_u32_e32 v3, s67, v3
	s_lshl_b32 s66, s6, 5
	v_lshlrev_b32_e32 v5, 1, v3
	buffer_load_dwordx4 v[118:121], v4, s[72:75], 0 offen
	buffer_load_dwordx4 v[122:125], v5, s[72:75], 0 offen
	v_xor_b32_e32 v137, v136, v1
	v_lshlrev_b32_e32 v0, 8, v136
	v_add_u32_e32 v169, s66, v136
	v_add_u32_e32 v3, s67, v3
	v_lshl_or_b32 v168, v137, 3, v0
	v_mul_lo_u32 v0, v169, s68
	v_add_u32_e32 v170, s67, v3
	s_mul_i32 s1, s1, s68
	v_add_u32_e32 v2, v0, v2
	v_lshlrev_b32_e32 v4, 1, v3
	v_lshlrev_b32_e32 v3, 1, v170
	buffer_load_dwordx4 v[126:129], v4, s[72:75], 0 offen
	buffer_load_dwordx4 v[130:133], v3, s[72:75], 0 offen
	s_add_i32 s2, s2, s1
	v_lshlrev_b32_e32 v3, 1, v2
	v_add_u32_e32 v2, s68, v2
	s_lshl_b32 s78, s2, 1
	s_mov_b32 s79, s75
	v_lshlrev_b32_e32 v4, 1, v2
	v_add_u32_e32 v2, s68, v2
	buffer_load_dwordx4 v[62:65], v3, s[76:79], 0 offen
	buffer_load_dwordx4 v[54:57], v4, s[76:79], 0 offen
	v_lshlrev_b32_e32 v3, 1, v2
	v_add_u32_e32 v2, s68, v2
	v_lshlrev_b32_e32 v4, 1, v2
	v_add_u32_e32 v2, s68, v2
	buffer_load_dwordx4 v[58:61], v3, s[76:79], 0 offen
	buffer_load_dwordx4 v[46:49], v4, s[76:79], 0 offen
	v_lshlrev_b32_e32 v3, 1, v2
	v_add_u32_e32 v2, s68, v2
	;; [unrolled: 6-line block ×6, first 2 shown]
	v_lshlrev_b32_e32 v4, 1, v2
	v_add_u32_e32 v2, s68, v2
	v_add_u32_e32 v171, s68, v2
	v_cmp_gt_i32_e32 vcc, s64, v167
	v_add_u32_e32 v111, 1, v167
	v_add_u32_e32 v112, 2, v167
	;; [unrolled: 1-line block ×15, first 2 shown]
	buffer_load_dwordx4 v[18:21], v3, s[76:79], 0 offen
	buffer_load_dwordx4 v[6:9], v4, s[76:79], 0 offen
	v_lshlrev_b32_e32 v3, 1, v2
	v_lshlrev_b32_e32 v2, 1, v171
	s_mul_i32 s0, s67, -15
	s_waitcnt vmcnt(29)
	v_cndmask_b32_e32 v69, 0, v69, vcc
	v_cndmask_b32_e32 v68, 0, v68, vcc
	;; [unrolled: 1-line block ×4, first 2 shown]
	v_lshlrev_b32_e32 v167, 1, v168
	buffer_load_dwordx4 v[10:13], v3, s[76:79], 0 offen
	s_nop 0
	buffer_load_dwordx4 v[2:5], v2, s[76:79], 0 offen
	s_addk_i32 s0, 0x100
	ds_write_b128 v167, v[66:69]
	v_or_b32_e32 v66, 1, v136
	v_add_u32_e32 v170, s0, v170
	s_mul_i32 s0, s68, -15
	v_xor_b32_e32 v66, v66, v1
	s_addk_i32 s0, 0x100
	v_sub_u32_e32 v67, v66, v137
	v_or_b32_e32 v69, 2, v136
	v_add_u32_e32 v171, s0, v171
	v_cmp_gt_i32_e64 s[0:1], s64, v111
	v_lshlrev_b32_e32 v173, 3, v67
	v_lshlrev_b32_e32 v67, 4, v67
	v_xor_b32_e32 v69, v69, v1
	s_waitcnt vmcnt(30)
	v_cndmask_b32_e64 v73, 0, v73, s[0:1]
	v_cndmask_b32_e64 v72, 0, v72, s[0:1]
	;; [unrolled: 1-line block ×4, first 2 shown]
	v_add_u32_e32 v68, v167, v67
	v_sub_u32_e32 v66, v69, v66
	ds_write_b128 v68, v[70:73] offset:512
	v_lshlrev_b32_e32 v70, 3, v66
	buffer_store_dword v70, off, s[88:91], 0 offset:632 ; 4-byte Folded Spill
	v_add_u32_e32 v70, 0x100, v70
	v_add_u32_e32 v71, 0x100, v173
	buffer_store_dword v173, off, s[88:91], 0 offset:628 ; 4-byte Folded Spill
	buffer_store_dword v70, off, s[88:91], 0 offset:168 ; 4-byte Folded Spill
	;; [unrolled: 1-line block ×3, first 2 shown]
	v_add3_u32 v70, v71, v168, v70
	v_or_b32_e32 v71, 3, v136
	v_xor_b32_e32 v71, v71, v1
	v_sub_u32_e32 v69, v71, v69
	s_ashr_i32 s3, s8, 31
	v_lshlrev_b32_e32 v72, 3, v69
	s_lshr_b32 s3, s3, 27
	buffer_store_dword v72, off, s[88:91], 0 offset:636 ; 4-byte Folded Spill
	v_add_u32_e32 v73, 0x100, v72
	v_or_b32_e32 v72, 4, v136
	s_add_i32 s8, s8, s3
	v_cmp_gt_i32_e64 s[2:3], s64, v112
	v_lshlrev_b32_e32 v66, 4, v66
	s_movk_i32 s70, 0x200
	v_xor_b32_e32 v72, v72, v1
	s_waitcnt vmcnt(34)
	v_cndmask_b32_e64 v77, 0, v77, s[2:3]
	v_cndmask_b32_e64 v76, 0, v76, s[2:3]
	;; [unrolled: 1-line block ×4, first 2 shown]
	v_add3_u32 v68, v68, s70, v66
	v_sub_u32_e32 v71, v72, v71
	v_cmp_gt_i32_e64 s[4:5], s64, v113
	ds_write_b128 v68, v[74:77] offset:512
	v_lshlrev_b32_e32 v69, 4, v69
	v_lshlrev_b32_e32 v74, 3, v71
	s_waitcnt vmcnt(33)
	v_cndmask_b32_e64 v81, 0, v81, s[4:5]
	v_cndmask_b32_e64 v80, 0, v80, s[4:5]
	;; [unrolled: 1-line block ×4, first 2 shown]
	v_add3_u32 v68, v68, s70, v69
	buffer_store_dword v74, off, s[88:91], 0 offset:640 ; 4-byte Folded Spill
	v_add_u32_e32 v74, 0x100, v74
	ds_write_b128 v68, v[78:81] offset:512
	buffer_store_dword v73, off, s[88:91], 0 offset:176 ; 4-byte Folded Spill
	buffer_store_dword v74, off, s[88:91], 0 offset:180 ; 4-byte Folded Spill
	v_add3_u32 v70, v70, v73, v74
	v_or_b32_e32 v73, 5, v136
	v_xor_b32_e32 v73, v73, v1
	v_sub_u32_e32 v72, v73, v72
	v_lshlrev_b32_e32 v74, 3, v72
	buffer_store_dword v74, off, s[88:91], 0 offset:644 ; 4-byte Folded Spill
	v_add_u32_e32 v75, 0x100, v74
	v_or_b32_e32 v74, 6, v136
	v_xor_b32_e32 v74, v74, v1
	v_cmp_gt_i32_e64 s[6:7], s64, v134
	v_lshlrev_b32_e32 v71, 4, v71
	v_sub_u32_e32 v73, v74, v73
	s_ashr_i32 s87, s8, 5
	s_waitcnt vmcnt(36)
	v_cndmask_b32_e64 v85, 0, v85, s[6:7]
	v_cndmask_b32_e64 v84, 0, v84, s[6:7]
	v_cndmask_b32_e64 v83, 0, v83, s[6:7]
	v_cndmask_b32_e64 v82, 0, v82, s[6:7]
	v_cmp_gt_i32_e64 s[8:9], s64, v135
	v_add3_u32 v68, v68, s70, v71
	v_lshlrev_b32_e32 v72, 4, v72
	v_lshlrev_b32_e32 v76, 3, v73
	s_waitcnt vmcnt(35)
	v_cndmask_b32_e64 v89, 0, v89, s[8:9]
	v_cndmask_b32_e64 v88, 0, v88, s[8:9]
	v_cndmask_b32_e64 v87, 0, v87, s[8:9]
	v_cndmask_b32_e64 v86, 0, v86, s[8:9]
	ds_write_b128 v68, v[82:85] offset:512
	v_add3_u32 v68, v68, s70, v72
	buffer_store_dword v76, off, s[88:91], 0 offset:648 ; 4-byte Folded Spill
	v_add_u32_e32 v76, 0x100, v76
	ds_write_b128 v68, v[86:89] offset:512
	buffer_store_dword v75, off, s[88:91], 0 offset:184 ; 4-byte Folded Spill
	buffer_store_dword v76, off, s[88:91], 0 offset:188 ; 4-byte Folded Spill
	v_add3_u32 v70, v70, v75, v76
	v_or_b32_e32 v75, 7, v136
	v_xor_b32_e32 v75, v75, v1
	v_sub_u32_e32 v74, v75, v74
	v_lshlrev_b32_e32 v76, 3, v74
	buffer_store_dword v76, off, s[88:91], 0 offset:652 ; 4-byte Folded Spill
	v_add_u32_e32 v77, 0x100, v76
	v_or_b32_e32 v76, 8, v136
	v_xor_b32_e32 v76, v76, v1
	v_cmp_gt_i32_e64 s[10:11], s64, v138
	v_lshlrev_b32_e32 v73, 4, v73
	v_sub_u32_e32 v75, v76, v75
	s_waitcnt vmcnt(38)
	v_cndmask_b32_e64 v93, 0, v93, s[10:11]
	v_cndmask_b32_e64 v92, 0, v92, s[10:11]
	v_cndmask_b32_e64 v91, 0, v91, s[10:11]
	v_cndmask_b32_e64 v90, 0, v90, s[10:11]
	v_cmp_gt_i32_e64 s[12:13], s64, v139
	v_add3_u32 v68, v68, s70, v73
	v_lshlrev_b32_e32 v74, 4, v74
	v_lshlrev_b32_e32 v78, 3, v75
	s_waitcnt vmcnt(37)
	v_cndmask_b32_e64 v97, 0, v97, s[12:13]
	v_cndmask_b32_e64 v96, 0, v96, s[12:13]
	v_cndmask_b32_e64 v95, 0, v95, s[12:13]
	v_cndmask_b32_e64 v94, 0, v94, s[12:13]
	ds_write_b128 v68, v[90:93] offset:512
	v_add3_u32 v68, v68, s70, v74
	buffer_store_dword v78, off, s[88:91], 0 offset:656 ; 4-byte Folded Spill
	v_add_u32_e32 v78, 0x100, v78
	ds_write_b128 v68, v[94:97] offset:512
	buffer_store_dword v77, off, s[88:91], 0 offset:192 ; 4-byte Folded Spill
	buffer_store_dword v78, off, s[88:91], 0 offset:196 ; 4-byte Folded Spill
	v_add3_u32 v70, v70, v77, v78
	v_or_b32_e32 v77, 9, v136
	v_xor_b32_e32 v77, v77, v1
	v_sub_u32_e32 v76, v77, v76
	v_lshlrev_b32_e32 v78, 3, v76
	buffer_store_dword v78, off, s[88:91], 0 offset:660 ; 4-byte Folded Spill
	v_add_u32_e32 v79, 0x100, v78
	v_or_b32_e32 v78, 10, v136
	v_xor_b32_e32 v78, v78, v1
	v_cmp_gt_i32_e64 s[14:15], s64, v141
	v_lshlrev_b32_e32 v75, 4, v75
	v_sub_u32_e32 v77, v78, v77
	;; [unrolled: 33-line block ×4, first 2 shown]
	s_waitcnt vmcnt(44)
	v_cndmask_b32_e64 v121, 0, v121, s[22:23]
	v_cndmask_b32_e64 v120, 0, v120, s[22:23]
	;; [unrolled: 1-line block ×4, first 2 shown]
	v_cmp_gt_i32_e64 s[24:25], s64, v148
	v_add3_u32 v68, v68, s70, v79
	v_lshlrev_b32_e32 v80, 4, v80
	v_lshlrev_b32_e32 v82, 3, v81
	s_waitcnt vmcnt(43)
	v_cndmask_b32_e64 v125, 0, v125, s[24:25]
	v_cndmask_b32_e64 v124, 0, v124, s[24:25]
	;; [unrolled: 1-line block ×4, first 2 shown]
	ds_write_b128 v68, v[118:121] offset:512
	v_add3_u32 v68, v68, s70, v80
	buffer_store_dword v82, off, s[88:91], 0 offset:684 ; 4-byte Folded Spill
	v_add_u32_e32 v82, 0x100, v82
	ds_write_b128 v68, v[122:125] offset:512
	buffer_store_dword v83, off, s[88:91], 0 offset:680 ; 4-byte Folded Spill
	buffer_store_dword v82, off, s[88:91], 0 offset:216 ; 4-byte Folded Spill
	v_add3_u32 v70, v70, v83, v82
	v_or_b32_e32 v82, 15, v166
	v_xor_b32_e32 v82, v82, v172
	v_and_b32_e32 v82, 31, v82
	v_cmp_gt_i32_e64 s[26:27], s64, v149
	v_lshlrev_b32_e32 v81, 4, v81
	v_sub_u32_e32 v83, v82, v168
	s_waitcnt vmcnt(45)
	v_cndmask_b32_e64 v129, 0, v129, s[26:27]
	v_cndmask_b32_e64 v128, 0, v128, s[26:27]
	v_cndmask_b32_e64 v127, 0, v127, s[26:27]
	v_cndmask_b32_e64 v126, 0, v126, s[26:27]
	v_cmp_gt_i32_e64 s[28:29], s64, v150
	v_add3_u32 v68, v68, s70, v81
	v_lshl_add_u32 v70, v83, 3, v70
	v_lshlrev_b32_e32 v83, 4, v83
	s_waitcnt vmcnt(44)
	v_cndmask_b32_e64 v133, 0, v133, s[28:29]
	v_cndmask_b32_e64 v132, 0, v132, s[28:29]
	;; [unrolled: 1-line block ×4, first 2 shown]
	ds_write_b128 v68, v[126:129] offset:512
	v_add3_u32 v68, v68, s70, v83
	ds_write_b128 v68, v[130:133] offset:512
	v_sub_u32_e32 v68, v137, v82
	v_lshlrev_b32_e32 v68, 3, v68
	s_movk_i32 s30, 0xf200
	v_add_u32_e32 v151, 1, v169
	v_add3_u32 v166, v70, v68, s30
	v_cmp_gt_i32_e64 s[30:31], s65, v169
	v_add_u32_e32 v152, 2, v169
	s_waitcnt vmcnt(43)
	v_cndmask_b32_e64 v65, 0, v65, s[30:31]
	v_cndmask_b32_e64 v64, 0, v64, s[30:31]
	;; [unrolled: 1-line block ×4, first 2 shown]
	v_cmp_gt_i32_e64 s[34:35], s65, v151
	v_or_b32_e32 v68, 0x4000, v167
	v_add_u32_e32 v153, 3, v169
	s_waitcnt vmcnt(42)
	v_cndmask_b32_e64 v57, 0, v57, s[34:35]
	v_cndmask_b32_e64 v56, 0, v56, s[34:35]
	;; [unrolled: 1-line block ×4, first 2 shown]
	v_cmp_gt_i32_e64 s[36:37], s65, v152
	ds_write_b128 v167, v[62:65] offset:16384
	v_add_u32_e32 v62, v68, v67
	v_add_u32_e32 v182, 4, v169
	s_waitcnt vmcnt(41)
	v_cndmask_b32_e64 v61, 0, v61, s[36:37]
	v_cndmask_b32_e64 v60, 0, v60, s[36:37]
	v_cndmask_b32_e64 v59, 0, v59, s[36:37]
	v_cndmask_b32_e64 v58, 0, v58, s[36:37]
	v_cmp_gt_i32_e64 s[38:39], s65, v153
	ds_write_b128 v62, v[54:57] offset:512
	v_add3_u32 v54, v62, s70, v66
	v_add_u32_e32 v183, 5, v169
	s_waitcnt vmcnt(40)
	v_cndmask_b32_e64 v49, 0, v49, s[38:39]
	v_cndmask_b32_e64 v48, 0, v48, s[38:39]
	v_cndmask_b32_e64 v47, 0, v47, s[38:39]
	v_cndmask_b32_e64 v46, 0, v46, s[38:39]
	v_cmp_gt_i32_e64 s[40:41], s65, v182
	ds_write_b128 v54, v[58:61] offset:512
	v_add3_u32 v54, v54, s70, v69
	;; [unrolled: 9-line block ×12, first 2 shown]
	s_waitcnt vmcnt(29)
	v_cndmask_b32_e64 v13, 0, v13, s[60:61]
	v_cndmask_b32_e64 v12, 0, v12, s[60:61]
	;; [unrolled: 1-line block ×4, first 2 shown]
	v_cmp_gt_i32_e64 s[62:63], s65, v165
	ds_write_b128 v14, v[6:9] offset:512
	v_add3_u32 v6, v14, s70, v81
	s_waitcnt vmcnt(28)
	v_cndmask_b32_e64 v5, 0, v5, s[62:63]
	v_cndmask_b32_e64 v4, 0, v4, s[62:63]
	;; [unrolled: 1-line block ×4, first 2 shown]
	ds_write_b128 v6, v[10:13] offset:512
	v_add3_u32 v6, v6, s70, v83
	buffer_store_dword v172, off, s[88:91], 0 offset:692 ; 4-byte Folded Spill
	ds_write_b128 v6, v[2:5] offset:512
	v_lshlrev_b32_e32 v2, 1, v170
	v_add_u32_e32 v3, s67, v170
	v_lshlrev_b32_e32 v4, 1, v3
	buffer_load_dwordx4 v[74:77], v2, s[72:75], 0 offen
	buffer_load_dwordx4 v[70:73], v4, s[72:75], 0 offen
	v_add_u32_e32 v2, s67, v3
	v_lshlrev_b32_e32 v3, 1, v2
	v_add_u32_e32 v2, s67, v2
	v_lshlrev_b32_e32 v4, 1, v2
	v_add_u32_e32 v2, s67, v2
	buffer_load_dwordx4 v[66:69], v3, s[72:75], 0 offen
	buffer_load_dwordx4 v[118:121], v4, s[72:75], 0 offen
	v_lshlrev_b32_e32 v3, 1, v2
	v_add_u32_e32 v2, s67, v2
	v_lshlrev_b32_e32 v4, 1, v2
	v_add_u32_e32 v2, s67, v2
	buffer_load_dwordx4 v[114:117], v3, s[72:75], 0 offen
	buffer_load_dwordx4 v[106:109], v4, s[72:75], 0 offen
	;; [unrolled: 6-line block ×6, first 2 shown]
	v_lshlrev_b32_e32 v3, 1, v2
	v_add_lshl_u32 v2, v2, s67, 1
	buffer_load_dwordx4 v[42:45], v3, s[72:75], 0 offen
	buffer_load_dwordx4 v[38:41], v2, s[72:75], 0 offen
	v_lshlrev_b32_e32 v2, 1, v171
	v_add_u32_e32 v3, s68, v171
	v_lshlrev_b32_e32 v4, 1, v3
	buffer_load_dwordx4 v[48:51], v2, s[76:79], 0 offen
	buffer_load_dwordx4 v[178:181], v4, s[76:79], 0 offen
	v_add_u32_e32 v2, s68, v3
	v_lshlrev_b32_e32 v3, 1, v2
	buffer_load_dwordx4 v[6:9], v3, s[76:79], 0 offen
	v_add_u32_e32 v2, s68, v2
	v_lshlrev_b32_e32 v4, 1, v2
	s_waitcnt vmcnt(0)
	buffer_store_dword v6, off, s[88:91], 0 offset:248 ; 4-byte Folded Spill
	s_nop 0
	buffer_store_dword v7, off, s[88:91], 0 offset:252 ; 4-byte Folded Spill
	buffer_store_dword v8, off, s[88:91], 0 offset:256 ; 4-byte Folded Spill
	;; [unrolled: 1-line block ×3, first 2 shown]
	buffer_load_dwordx4 v[4:7], v4, s[76:79], 0 offen
	v_add_u32_e32 v2, s68, v2
	s_waitcnt vmcnt(0)
	buffer_store_dword v4, off, s[88:91], 0 offset:264 ; 4-byte Folded Spill
	s_nop 0
	buffer_store_dword v5, off, s[88:91], 0 offset:268 ; 4-byte Folded Spill
	buffer_store_dword v6, off, s[88:91], 0 offset:272 ; 4-byte Folded Spill
	;; [unrolled: 1-line block ×3, first 2 shown]
	v_lshlrev_b32_e32 v3, 1, v2
	v_add_u32_e32 v2, s68, v2
	v_lshlrev_b32_e32 v4, 1, v2
	v_add_u32_e32 v2, s68, v2
	buffer_load_dwordx4 v[30:33], v3, s[76:79], 0 offen
	buffer_load_dwordx4 v[34:37], v4, s[76:79], 0 offen
	v_lshlrev_b32_e32 v3, 1, v2
	v_add_u32_e32 v2, s68, v2
	v_lshlrev_b32_e32 v4, 1, v2
	v_add_u32_e32 v2, s68, v2
	buffer_load_dwordx4 v[174:177], v3, s[76:79], 0 offen
	buffer_load_dwordx4 v[130:133], v4, s[76:79], 0 offen
	;; [unrolled: 6-line block ×5, first 2 shown]
	v_lshlrev_b32_e32 v3, 1, v2
	v_add_lshl_u32 v2, v2, s68, 1
	buffer_load_dwordx4 v[62:65], v3, s[76:79], 0 offen
	buffer_load_dwordx4 v[26:29], v2, s[76:79], 0 offen
	v_and_b32_e32 v143, 15, v172
	v_or_b32_e32 v3, 1, v144
	v_lshlrev_b32_e32 v2, 9, v143
	v_xor_b32_e32 v4, v3, v143
	v_lshl_or_b32 v4, v4, 4, v2
	buffer_store_dword v4, off, s[88:91], 0 offset:108 ; 4-byte Folded Spill
	v_or_b32_e32 v4, 2, v144
	v_xor_b32_e32 v5, v4, v143
	v_lshl_or_b32 v5, v5, 4, v2
	buffer_store_dword v5, off, s[88:91], 0 offset:112 ; 4-byte Folded Spill
	v_or_b32_e32 v5, 3, v144
	;; [unrolled: 4-line block ×4, first 2 shown]
	v_xor_b32_e32 v8, v7, v143
	v_lshl_or_b32 v8, v8, 4, v2
	v_lshlrev_b32_e32 v0, 1, v0
	buffer_store_dword v8, off, s[88:91], 0 offset:124 ; 4-byte Folded Spill
	v_or_b32_e32 v8, 6, v144
	buffer_store_dword v0, off, s[88:91], 0 offset:40 ; 4-byte Folded Spill
	v_mul_lo_u32 v0, s67, v150
	v_xor_b32_e32 v9, v8, v143
	v_lshlrev_b32_e32 v0, 1, v0
	v_lshl_or_b32 v9, v9, 4, v2
	buffer_store_dword v0, off, s[88:91], 0 offset:44 ; 4-byte Folded Spill
	v_mul_lo_u32 v0, s67, v149
	buffer_store_dword v9, off, s[88:91], 0 offset:128 ; 4-byte Folded Spill
	v_or_b32_e32 v9, 7, v144
	v_lshlrev_b32_e32 v0, 1, v0
	v_xor_b32_e32 v140, v144, v143
	v_xor_b32_e32 v10, v9, v143
	buffer_store_dword v0, off, s[88:91], 0 offset:48 ; 4-byte Folded Spill
	v_mul_lo_u32 v0, s67, v148
	v_lshl_or_b32 v12, v140, 4, v2
	v_lshl_or_b32 v2, v10, 4, v2
	v_lshlrev_b32_e32 v0, 1, v0
	buffer_store_dword v2, off, s[88:91], 0 offset:132 ; 4-byte Folded Spill
	v_or_b32_e32 v2, 16, v143
	buffer_store_dword v0, off, s[88:91], 0 offset:52 ; 4-byte Folded Spill
	v_mul_lo_u32 v0, s67, v147
	v_xor_b32_sdwa v10, v144, v2 dst_sel:DWORD dst_unused:UNUSED_PAD src0_sel:DWORD src1_sel:WORD_0
	v_xor_b32_sdwa v3, v3, v2 dst_sel:DWORD dst_unused:UNUSED_PAD src0_sel:DWORD src1_sel:WORD_0
	;; [unrolled: 1-line block ×8, first 2 shown]
	v_or_b32_e32 v9, 15, v136
	v_lshlrev_b32_e32 v0, 1, v0
	v_xor_b32_e32 v9, v9, v1
	v_lshlrev_b32_e32 v226, 4, v1
	v_mul_lo_u32 v1, s68, v165
	buffer_store_dword v0, off, s[88:91], 0 offset:56 ; 4-byte Folded Spill
	v_mul_lo_u32 v0, s67, v146
	v_lshlrev_b32_e32 v1, 1, v1
	v_lshlrev_b32_e32 v0, 1, v0
	buffer_store_dword v1, off, s[88:91], 0 offset:228 ; 4-byte Folded Spill
	v_mul_lo_u32 v1, s68, v164
	buffer_store_dword v0, off, s[88:91], 0 offset:60 ; 4-byte Folded Spill
	v_mul_lo_u32 v0, s67, v145
	v_lshlrev_b32_e32 v1, 1, v1
	v_lshlrev_b32_e32 v0, 1, v0
	buffer_store_dword v1, off, s[88:91], 0 offset:232 ; 4-byte Folded Spill
	v_mul_lo_u32 v1, s68, v163
	buffer_store_dword v0, off, s[88:91], 0 offset:64 ; 4-byte Folded Spill
	v_mul_lo_u32 v0, s67, v142
	v_lshlrev_b32_e32 v1, 1, v1
	v_lshlrev_b32_e32 v0, 1, v0
	buffer_store_dword v1, off, s[88:91], 0 ; 4-byte Folded Spill
	v_mul_lo_u32 v1, s68, v162
	buffer_store_dword v0, off, s[88:91], 0 offset:68 ; 4-byte Folded Spill
	v_mul_lo_u32 v0, s67, v141
	v_lshlrev_b32_e32 v1, 1, v1
	v_lshlrev_b32_e32 v0, 1, v0
	buffer_store_dword v1, off, s[88:91], 0 offset:236 ; 4-byte Folded Spill
	v_mul_lo_u32 v1, s68, v189
	buffer_store_dword v0, off, s[88:91], 0 offset:72 ; 4-byte Folded Spill
	v_mul_lo_u32 v0, s67, v139
	v_lshlrev_b32_e32 v1, 1, v1
	v_lshlrev_b32_e32 v0, 1, v0
	buffer_store_dword v1, off, s[88:91], 0 offset:4 ; 4-byte Folded Spill
	;; [unrolled: 6-line block ×7, first 2 shown]
	v_mul_lo_u32 v1, s68, v183
	buffer_store_dword v0, off, s[88:91], 0 offset:96 ; 4-byte Folded Spill
	v_mul_lo_u32 v0, s67, v111
	v_sub_u32_e32 v10, v10, v140
	v_lshlrev_b32_e32 v1, 1, v1
	v_lshlrev_b32_e32 v0, 1, v0
	;; [unrolled: 1-line block ×3, first 2 shown]
	v_sub_u32_e32 v3, v3, v140
	buffer_store_dword v1, off, s[88:91], 0 offset:20 ; 4-byte Folded Spill
	v_mul_lo_u32 v1, s68, v182
	buffer_store_dword v0, off, s[88:91], 0 offset:100 ; 4-byte Folded Spill
	v_lshlrev_b32_e32 v0, 1, v110
	v_lshlrev_b32_e32 v3, 4, v3
	v_sub_u32_e32 v4, v4, v140
	v_lshlrev_b32_e32 v1, 1, v1
	buffer_store_dword v0, off, s[88:91], 0 offset:104 ; 4-byte Folded Spill
	v_add_u32_e32 v0, v12, v10
	v_lshlrev_b32_e32 v4, 4, v4
	v_sub_u32_e32 v5, v5, v140
	buffer_store_dword v1, off, s[88:91], 0 offset:24 ; 4-byte Folded Spill
	v_mul_lo_u32 v1, s68, v153
	buffer_store_dword v0, off, s[88:91], 0 offset:164 ; 4-byte Folded Spill
	v_add_u32_e32 v0, v12, v3
	v_lshlrev_b32_e32 v5, 4, v5
	v_sub_u32_e32 v6, v6, v140
	v_sub_u32_e32 v11, v9, v168
	v_lshlrev_b32_e32 v1, 1, v1
	buffer_store_dword v0, off, s[88:91], 0 offset:160 ; 4-byte Folded Spill
	v_add_u32_e32 v0, v12, v4
	v_lshlrev_b32_e32 v6, 4, v6
	v_sub_u32_e32 v7, v7, v140
	v_lshlrev_b32_e32 v11, 3, v11
	buffer_store_dword v1, off, s[88:91], 0 offset:28 ; 4-byte Folded Spill
	v_mul_lo_u32 v1, s68, v152
	buffer_store_dword v0, off, s[88:91], 0 offset:156 ; 4-byte Folded Spill
	v_add_u32_e32 v0, v12, v5
	v_lshlrev_b32_e32 v7, 4, v7
	v_sub_u32_e32 v8, v8, v140
	buffer_store_dword v11, off, s[88:91], 0 offset:688 ; 4-byte Folded Spill
	v_add_u32_e32 v11, 0x100, v11
	v_lshlrev_b32_e32 v1, 1, v1
	buffer_store_dword v0, off, s[88:91], 0 offset:152 ; 4-byte Folded Spill
	v_add_u32_e32 v0, v12, v6
	v_lshlrev_b32_e32 v8, 4, v8
	v_sub_u32_e32 v2, v2, v140
	buffer_store_dword v11, off, s[88:91], 0 offset:220 ; 4-byte Folded Spill
	v_sub_u32_e32 v9, v137, v9
	v_mov_b32_e32 v11, 0xfffff100
	buffer_store_dword v1, off, s[88:91], 0 offset:32 ; 4-byte Folded Spill
	v_mul_lo_u32 v1, s68, v151
	buffer_store_dword v0, off, s[88:91], 0 offset:148 ; 4-byte Folded Spill
	v_add_u32_e32 v0, v12, v7
	v_lshlrev_b32_e32 v2, 4, v2
	v_lshl_add_u32 v9, v9, 3, v11
	v_lshlrev_b32_e32 v1, 1, v1
	v_mov_b32_e32 v146, 0
	buffer_store_dword v0, off, s[88:91], 0 offset:144 ; 4-byte Folded Spill
	v_add_u32_e32 v0, v12, v8
	s_movk_i32 s86, 0x4000
	s_add_i32 s87, s87, -2
	buffer_store_dword v9, off, s[88:91], 0 offset:224 ; 4-byte Folded Spill
	buffer_store_dword v1, off, s[88:91], 0 offset:36 ; 4-byte Folded Spill
	;; [unrolled: 1-line block ×4, first 2 shown]
	v_add_u32_e32 v0, v12, v2
	v_mov_b32_e32 v4, v166
	v_mov_b32_e32 v147, v146
	;; [unrolled: 1-line block ×16, first 2 shown]
	buffer_store_dword v0, off, s[88:91], 0 offset:136 ; 4-byte Folded Spill
.LBB3_12:                               ; =>This Inner Loop Header: Depth=1
	s_waitcnt vmcnt(56)
	buffer_store_dword v82, off, s[88:91], 0 offset:364 ; 4-byte Folded Spill
	s_nop 0
	buffer_store_dword v83, off, s[88:91], 0 offset:368 ; 4-byte Folded Spill
	buffer_store_dword v84, off, s[88:91], 0 offset:372 ; 4-byte Folded Spill
	buffer_store_dword v85, off, s[88:91], 0 offset:376 ; 4-byte Folded Spill
	s_waitcnt vmcnt(59)
	buffer_store_dword v78, off, s[88:91], 0 offset:348 ; 4-byte Folded Spill
	s_nop 0
	buffer_store_dword v79, off, s[88:91], 0 offset:352 ; 4-byte Folded Spill
	buffer_store_dword v80, off, s[88:91], 0 offset:356 ; 4-byte Folded Spill
	buffer_store_dword v81, off, s[88:91], 0 offset:360 ; 4-byte Folded Spill
	s_waitcnt vmcnt(62)
	buffer_store_dword v52, off, s[88:91], 0 offset:332 ; 4-byte Folded Spill
	s_nop 0
	buffer_store_dword v53, off, s[88:91], 0 offset:336 ; 4-byte Folded Spill
	buffer_store_dword v54, off, s[88:91], 0 offset:340 ; 4-byte Folded Spill
	buffer_store_dword v55, off, s[88:91], 0 offset:344 ; 4-byte Folded Spill
	s_waitcnt vmcnt(62)
	buffer_store_dword v58, off, s[88:91], 0 offset:316 ; 4-byte Folded Spill
	s_nop 0
	buffer_store_dword v59, off, s[88:91], 0 offset:320 ; 4-byte Folded Spill
	buffer_store_dword v60, off, s[88:91], 0 offset:324 ; 4-byte Folded Spill
	buffer_store_dword v61, off, s[88:91], 0 offset:328 ; 4-byte Folded Spill
	buffer_store_dword v62, off, s[88:91], 0 offset:300 ; 4-byte Folded Spill
	s_nop 0
	buffer_store_dword v63, off, s[88:91], 0 offset:304 ; 4-byte Folded Spill
	buffer_store_dword v64, off, s[88:91], 0 offset:308 ; 4-byte Folded Spill
	;; [unrolled: 1-line block ×4, first 2 shown]
	s_nop 0
	buffer_store_dword v27, off, s[88:91], 0 offset:288 ; 4-byte Folded Spill
	buffer_store_dword v28, off, s[88:91], 0 offset:292 ; 4-byte Folded Spill
	;; [unrolled: 1-line block ×4, first 2 shown]
	s_waitcnt lgkmcnt(0)
	; wave barrier
	buffer_load_dword v12, off, s[88:91], 0 offset:624 ; 4-byte Folded Reload
	v_pk_mov_b32 v[4:5], v[182:183], v[182:183] op_sel:[0,1]
	v_pk_mov_b32 v[26:27], v[178:179], v[178:179] op_sel:[0,1]
	;; [unrolled: 1-line block ×5, first 2 shown]
	v_mov_b32_e32 v227, v166
	v_pk_mov_b32 v[10:11], v[164:165], v[164:165] op_sel:[0,1]
	v_pk_mov_b32 v[60:61], v[36:37], v[36:37] op_sel:[0,1]
	;; [unrolled: 1-line block ×7, first 2 shown]
	s_waitcnt vmcnt(0)
	ds_read_b128 v[206:209], v12
	ds_read_b128 v[210:213], v12 offset:16384
	buffer_load_dword v0, off, s[88:91], 0 offset:108 ; 4-byte Folded Reload
	s_waitcnt vmcnt(0)
	ds_read_b128 v[214:217], v0
	ds_read_b128 v[218:221], v0 offset:16384
	buffer_load_dword v0, off, s[88:91], 0 offset:112 ; 4-byte Folded Reload
	s_waitcnt vmcnt(0)
	ds_read_b128 v[222:225], v0
	ds_read_b128 v[228:231], v0 offset:16384
	buffer_load_dword v0, off, s[88:91], 0 offset:116 ; 4-byte Folded Reload
	s_waitcnt vmcnt(0)
	ds_read_b128 v[232:235], v0
	ds_read_b128 v[236:239], v0 offset:16384
	buffer_load_dword v0, off, s[88:91], 0 offset:120 ; 4-byte Folded Reload
	s_waitcnt vmcnt(0)
	ds_read_b128 v[240:243], v0
	ds_read_b128 v[244:247], v0 offset:16384
	buffer_load_dword v0, off, s[88:91], 0 offset:124 ; 4-byte Folded Reload
	s_waitcnt vmcnt(0)
	ds_read_b128 v[182:185], v0
	ds_read_b128 v[178:181], v0 offset:16384
	buffer_load_dword v0, off, s[88:91], 0 offset:128 ; 4-byte Folded Reload
	s_waitcnt vmcnt(0)
	ds_read_b128 v[166:169], v0
	ds_read_b128 v[162:165], v0 offset:16384
	buffer_load_dword v0, off, s[88:91], 0 offset:132 ; 4-byte Folded Reload
	s_waitcnt vmcnt(0)
	ds_read_b128 v[82:85], v0
	ds_read_b128 v[78:81], v0 offset:16384
	buffer_load_dword v0, off, s[88:91], 0 offset:164 ; 4-byte Folded Reload
	s_waitcnt vmcnt(0)
	ds_read_b128 v[248:251], v0 offset:8192
	ds_read_b128 v[252:255], v0 offset:24576
	buffer_load_dword v0, off, s[88:91], 0 offset:160 ; 4-byte Folded Reload
	s_waitcnt vmcnt(0)
	ds_read_b128 v[186:189], v0 offset:8192
	ds_read_b128 v[190:193], v0 offset:24576
	buffer_load_dword v0, off, s[88:91], 0 offset:156 ; 4-byte Folded Reload
	;; [unrolled: 4-line block ×6, first 2 shown]
	s_waitcnt vmcnt(0)
	ds_read_b128 v[170:173], v13 offset:8192
	buffer_load_dword v30, off, s[88:91], 0 offset:264 ; 4-byte Folded Reload
	buffer_load_dword v31, off, s[88:91], 0 offset:268 ; 4-byte Folded Reload
	;; [unrolled: 1-line block ×8, first 2 shown]
	ds_read_b128 v[174:177], v13 offset:24576
	buffer_load_dword v13, off, s[88:91], 0 offset:136 ; 4-byte Folded Reload
	s_waitcnt vmcnt(0)
	ds_read_b128 v[154:157], v13 offset:8192
	ds_read_b128 v[158:161], v13 offset:24576
	; sched_barrier mask(0x00000000)
	; wave barrier
	; sched_barrier mask(0x00000000)
	s_waitcnt lgkmcnt(14)
	v_mfma_f32_16x16x16f16 v[4:7], v[206:207], v[210:211], v[4:7]
	v_mfma_f32_16x16x16f16 v[4:7], v[208:209], v[212:213], v[4:7]
	; sched_barrier mask(0x00000000)
	s_setprio 1
	; sched_barrier mask(0x00000000)
	v_mfma_f32_16x16x16f16 v[8:11], v[206:207], v[252:253], v[8:11]
	v_mfma_f32_16x16x16f16 v[8:11], v[208:209], v[254:255], v[8:11]
	v_mfma_f32_16x16x16f16 v[206:209], v[248:249], v[210:211], v[150:153]
	v_mfma_f32_16x16x16f16 v[4:7], v[214:215], v[218:219], v[4:7]
	v_mfma_f32_16x16x16f16 v[206:209], v[250:251], v[212:213], v[206:209]
	v_mfma_f32_16x16x16f16 v[210:213], v[248:249], v[252:253], v[146:149]
	v_mfma_f32_16x16x16f16 v[4:7], v[216:217], v[220:221], v[4:7]
	s_waitcnt lgkmcnt(12)
	v_mfma_f32_16x16x16f16 v[8:11], v[214:215], v[190:191], v[8:11]
	v_mfma_f32_16x16x16f16 v[210:213], v[250:251], v[254:255], v[210:213]
	v_mfma_f32_16x16x16f16 v[8:11], v[216:217], v[192:193], v[8:11]
	v_mfma_f32_16x16x16f16 v[206:209], v[186:187], v[218:219], v[206:209]
	v_mfma_f32_16x16x16f16 v[4:7], v[222:223], v[228:229], v[4:7]
	v_mfma_f32_16x16x16f16 v[206:209], v[188:189], v[220:221], v[206:209]
	v_mfma_f32_16x16x16f16 v[210:213], v[186:187], v[190:191], v[210:213]
	v_mfma_f32_16x16x16f16 v[4:7], v[224:225], v[230:231], v[4:7]
	s_waitcnt lgkmcnt(10)
	v_mfma_f32_16x16x16f16 v[8:11], v[222:223], v[198:199], v[8:11]
	;; [unrolled: 9-line block ×6, first 2 shown]
	v_mfma_f32_16x16x16f16 v[0:3], v[144:145], v[2:3], v[110:113]
	v_mfma_f32_16x16x16f16 v[8:11], v[168:169], v[176:177], v[8:11]
	;; [unrolled: 1-line block ×6, first 2 shown]
	s_waitcnt lgkmcnt(0)
	v_mfma_f32_16x16x16f16 v[4:7], v[82:83], v[158:159], v[8:11]
	v_mfma_f32_16x16x16f16 v[236:239], v[84:85], v[160:161], v[4:7]
	;; [unrolled: 1-line block ×5, first 2 shown]
	s_nop 7
	s_nop 2
	buffer_store_dword v4, off, s[88:91], 0 offset:592 ; 4-byte Folded Spill
	s_nop 0
	buffer_store_dword v5, off, s[88:91], 0 offset:596 ; 4-byte Folded Spill
	buffer_store_dword v6, off, s[88:91], 0 offset:600 ; 4-byte Folded Spill
	;; [unrolled: 1-line block ×3, first 2 shown]
	v_mfma_f32_16x16x16f16 v[0:3], v[172:173], v[176:177], v[0:3]
	; sched_barrier mask(0x00000000)
	s_waitcnt lgkmcnt(0)
	; wave barrier
	; sched_barrier mask(0x00000000)
	v_mfma_f32_16x16x16f16 v[0:3], v[154:155], v[158:159], v[0:3]
	v_mfma_f32_16x16x16f16 v[0:3], v[156:157], v[160:161], v[0:3]
	s_nop 7
	s_nop 2
	buffer_store_dword v0, off, s[88:91], 0 offset:608 ; 4-byte Folded Spill
	s_nop 0
	buffer_store_dword v1, off, s[88:91], 0 offset:612 ; 4-byte Folded Spill
	buffer_store_dword v2, off, s[88:91], 0 offset:616 ; 4-byte Folded Spill
	;; [unrolled: 1-line block ×3, first 2 shown]
	; sched_barrier mask(0x00000000)
	s_setprio 0
	; sched_barrier mask(0x00000000)
	v_cndmask_b32_e32 v3, 0, v77, vcc
	v_cndmask_b32_e32 v2, 0, v76, vcc
	;; [unrolled: 1-line block ×4, first 2 shown]
	v_lshlrev_b32_e32 v13, 1, v227
	ds_write_b128 v13, v[0:3]
	buffer_load_dword v0, off, s[88:91], 0 offset:628 ; 4-byte Folded Reload
	v_cndmask_b32_e64 v7, 0, v73, s[0:1]
	v_cndmask_b32_e64 v6, 0, v72, s[0:1]
	;; [unrolled: 1-line block ×74, first 2 shown]
	s_waitcnt vmcnt(0)
	v_lshlrev_b32_e32 v1, 1, v0
	v_add_u32_e32 v0, v13, v1
	v_mov_b32_e32 v111, v1
	buffer_store_dword v111, off, s[88:91], 0 offset:588 ; 4-byte Folded Spill
	ds_write_b128 v0, v[4:7] offset:512
	buffer_load_dword v2, off, s[88:91], 0 offset:168 ; 4-byte Folded Reload
	buffer_load_dword v3, off, s[88:91], 0 offset:172 ; 4-byte Folded Reload
	v_cndmask_b32_e64 v7, 0, v29, s[34:35]
	v_cndmask_b32_e64 v6, 0, v28, s[34:35]
	;; [unrolled: 1-line block ×8, first 2 shown]
	s_waitcnt vmcnt(1)
	v_mov_b32_e32 v110, v2
	s_waitcnt vmcnt(0)
	v_add3_u32 v1, v227, v3, v2
	buffer_load_dword v2, off, s[88:91], 0 offset:632 ; 4-byte Folded Reload
	v_mov_b32_e32 v113, v3
	s_waitcnt vmcnt(0)
	v_lshlrev_b32_e32 v2, 1, v2
	v_add3_u32 v0, v0, s70, v2
	v_mov_b32_e32 v112, v2
	buffer_load_dword v2, off, s[88:91], 0 offset:636 ; 4-byte Folded Reload
	ds_write_b128 v0, v[8:11] offset:512
	buffer_store_dword v112, off, s[88:91], 0 offset:580 ; 4-byte Folded Spill
	v_cndmask_b32_e64 v11, 0, v37, s[36:37]
	v_cndmask_b32_e64 v10, 0, v36, s[36:37]
	;; [unrolled: 1-line block ×8, first 2 shown]
	s_waitcnt vmcnt(1)
	v_lshlrev_b32_e32 v2, 1, v2
	v_add3_u32 v0, v0, s70, v2
	v_mov_b32_e32 v134, v2
	buffer_store_dword v134, off, s[88:91], 0 offset:584 ; 4-byte Folded Spill
	ds_write_b128 v0, v[118:121] offset:512
	buffer_load_dword v2, off, s[88:91], 0 offset:176 ; 4-byte Folded Reload
	buffer_load_dword v3, off, s[88:91], 0 offset:180 ; 4-byte Folded Reload
	s_waitcnt vmcnt(1)
	v_mov_b32_e32 v118, v2
	s_waitcnt vmcnt(0)
	v_add3_u32 v1, v1, v2, v3
	buffer_load_dword v2, off, s[88:91], 0 offset:640 ; 4-byte Folded Reload
	v_mov_b32_e32 v119, v3
	s_waitcnt vmcnt(0)
	v_lshlrev_b32_e32 v2, 1, v2
	v_add3_u32 v0, v0, s70, v2
	v_mov_b32_e32 v120, v2
	buffer_load_dword v2, off, s[88:91], 0 offset:644 ; 4-byte Folded Reload
	ds_write_b128 v0, v[114:117] offset:512
	buffer_store_dword v120, off, s[88:91], 0 offset:572 ; 4-byte Folded Spill
	s_waitcnt vmcnt(1)
	v_lshlrev_b32_e32 v2, 1, v2
	v_add3_u32 v0, v0, s70, v2
	v_mov_b32_e32 v114, v2
	buffer_store_dword v114, off, s[88:91], 0 offset:576 ; 4-byte Folded Spill
	ds_write_b128 v0, v[106:109] offset:512
	buffer_load_dword v2, off, s[88:91], 0 offset:184 ; 4-byte Folded Reload
	buffer_load_dword v3, off, s[88:91], 0 offset:188 ; 4-byte Folded Reload
	s_waitcnt vmcnt(1)
	v_mov_b32_e32 v106, v2
	s_waitcnt vmcnt(0)
	v_add3_u32 v1, v1, v2, v3
	buffer_load_dword v2, off, s[88:91], 0 offset:648 ; 4-byte Folded Reload
	v_mov_b32_e32 v107, v3
	s_waitcnt vmcnt(0)
	v_lshlrev_b32_e32 v2, 1, v2
	v_add3_u32 v0, v0, s70, v2
	v_mov_b32_e32 v108, v2
	buffer_load_dword v2, off, s[88:91], 0 offset:652 ; 4-byte Folded Reload
	ds_write_b128 v0, v[102:105] offset:512
	buffer_store_dword v108, off, s[88:91], 0 offset:548 ; 4-byte Folded Spill
	;; [unrolled: 21-line block ×5, first 2 shown]
	s_waitcnt vmcnt(1)
	v_lshlrev_b32_e32 v2, 1, v2
	v_add3_u32 v0, v0, s70, v2
	v_mov_b32_e32 v78, v2
	buffer_store_dword v78, off, s[88:91], 0 offset:528 ; 4-byte Folded Spill
	ds_write_b128 v0, v[74:77] offset:512
	buffer_load_dword v2, off, s[88:91], 0 offset:680 ; 4-byte Folded Reload
	buffer_load_dword v3, off, s[88:91], 0 offset:216 ; 4-byte Folded Reload
	s_waitcnt vmcnt(1)
	v_mov_b32_e32 v74, v2
	s_waitcnt vmcnt(0)
	v_add3_u32 v1, v1, v2, v3
	buffer_load_dword v2, off, s[88:91], 0 offset:684 ; 4-byte Folded Reload
	v_mov_b32_e32 v75, v3
	v_cndmask_b32_e64 v3, 0, v51, s[30:31]
	v_cndmask_b32_e64 v51, 0, v31, s[38:39]
	;; [unrolled: 1-line block ×3, first 2 shown]
	s_waitcnt vmcnt(0)
	v_lshlrev_b32_e32 v2, 1, v2
	v_add3_u32 v0, v0, s70, v2
	v_mov_b32_e32 v76, v2
	buffer_load_dword v2, off, s[88:91], 0 offset:688 ; 4-byte Folded Reload
	ds_write_b128 v0, v[70:73] offset:512
	buffer_store_dword v76, off, s[88:91], 0 offset:500 ; 4-byte Folded Spill
	s_waitcnt vmcnt(1)
	v_lshlrev_b32_e32 v2, 1, v2
	v_add3_u32 v0, v0, s70, v2
	v_mov_b32_e32 v70, v2
	buffer_store_dword v0, off, s[88:91], 0 offset:464 ; 4-byte Folded Spill
	buffer_store_dword v70, off, s[88:91], 0 offset:504 ; 4-byte Folded Spill
	ds_write_b128 v0, v[66:69] offset:512
	buffer_load_dword v0, off, s[88:91], 0 offset:220 ; 4-byte Folded Reload
	buffer_load_dword v2, off, s[88:91], 0 offset:224 ; 4-byte Folded Reload
	s_waitcnt vmcnt(1)
	v_mov_b32_e32 v66, v0
	s_waitcnt vmcnt(0)
	v_add3_u32 v1, v1, v0, v2
	buffer_store_dword v1, off, s[88:91], 0 offset:460 ; 4-byte Folded Spill
	buffer_load_dword v14, off, s[88:91], 0 offset:364 ; 4-byte Folded Reload
	buffer_load_dword v15, off, s[88:91], 0 offset:368 ; 4-byte Folded Reload
	;; [unrolled: 1-line block ×4, first 2 shown]
	v_cndmask_b32_e64 v1, 0, v49, s[30:31]
	v_cndmask_b32_e64 v0, 0, v48, s[30:31]
	;; [unrolled: 1-line block ×4, first 2 shown]
	v_mov_b32_e32 v67, v2
	v_cndmask_b32_e64 v2, 0, v50, s[30:31]
	v_cndmask_b32_e64 v50, 0, v30, s[38:39]
	;; [unrolled: 1-line block ×3, first 2 shown]
	s_waitcnt vmcnt(0)
	v_cndmask_b32_e64 v25, 0, v17, s[52:53]
	v_cndmask_b32_e64 v24, 0, v16, s[52:53]
	;; [unrolled: 1-line block ×4, first 2 shown]
	buffer_load_dword v14, off, s[88:91], 0 offset:348 ; 4-byte Folded Reload
	buffer_load_dword v15, off, s[88:91], 0 offset:352 ; 4-byte Folded Reload
	;; [unrolled: 1-line block ×4, first 2 shown]
	s_waitcnt vmcnt(0)
	v_cndmask_b32_e64 v21, 0, v17, s[54:55]
	v_cndmask_b32_e64 v20, 0, v16, s[54:55]
	;; [unrolled: 1-line block ×4, first 2 shown]
	buffer_load_dword v14, off, s[88:91], 0 offset:332 ; 4-byte Folded Reload
	buffer_load_dword v15, off, s[88:91], 0 offset:336 ; 4-byte Folded Reload
	;; [unrolled: 1-line block ×17, first 2 shown]
	s_waitcnt vmcnt(13)
	v_cndmask_b32_e64 v17, 0, v17, s[56:57]
	v_cndmask_b32_e64 v16, 0, v16, s[56:57]
	;; [unrolled: 1-line block ×4, first 2 shown]
	s_waitcnt vmcnt(0)
	v_lshlrev_b32_e32 v13, 1, v68
	ds_write_b128 v13, v[0:3] offset:16384
	v_add3_u32 v0, v13, s86, v111
	ds_write_b128 v0, v[4:7] offset:512
	v_add3_u32 v0, v0, s70, v112
	;; [unrolled: 2-line block ×8, first 2 shown]
	v_add3_u32 v1, v68, v113, v110
	ds_write_b128 v0, v[30:33] offset:512
	v_add3_u32 v0, v0, s70, v94
	v_add3_u32 v1, v1, v118, v119
	ds_write_b128 v0, v[26:29] offset:512
	v_add3_u32 v0, v0, s70, v92
	;; [unrolled: 3-line block ×4, first 2 shown]
	v_cndmask_b32_e64 v57, 0, v57, s[58:59]
	v_cndmask_b32_e64 v56, 0, v56, s[58:59]
	v_cndmask_b32_e64 v55, 0, v55, s[58:59]
	v_cndmask_b32_e64 v54, 0, v54, s[58:59]
	v_add3_u32 v1, v1, v90, v91
	ds_write_b128 v0, v[14:17] offset:512
	v_add3_u32 v0, v0, s70, v78
	v_cndmask_b32_e64 v61, 0, v61, s[60:61]
	v_cndmask_b32_e64 v60, 0, v60, s[60:61]
	v_cndmask_b32_e64 v59, 0, v59, s[60:61]
	v_cndmask_b32_e64 v58, 0, v58, s[60:61]
	v_add3_u32 v1, v1, v82, v83
	ds_write_b128 v0, v[54:57] offset:512
	v_add3_u32 v0, v0, s70, v76
	;; [unrolled: 7-line block ×3, first 2 shown]
	buffer_store_dword v0, off, s[88:91], 0 offset:456 ; 4-byte Folded Spill
	ds_write_b128 v0, v[62:65] offset:512
	v_add3_u32 v0, v1, v66, v67
	buffer_store_dword v0, off, s[88:91], 0 offset:452 ; 4-byte Folded Spill
	buffer_load_dword v0, off, s[88:91], 0 offset:104 ; 4-byte Folded Reload
	v_mov_b32_e32 v56, v74
	s_waitcnt vmcnt(0)
	v_add_u32_e32 v1, v226, v0
	buffer_load_dword v0, off, s[88:91], 0 offset:100 ; 4-byte Folded Reload
	s_waitcnt vmcnt(0)
	v_add_u32_e32 v0, v226, v0
	buffer_store_dword v1, off, s[88:91], 0 offset:264 ; 4-byte Folded Spill
	buffer_store_dword v0, off, s[88:91], 0 offset:248 ; 4-byte Folded Spill
	buffer_load_dwordx4 v[130:133], v1, s[72:75], 0 offen offset:1024
	buffer_load_dwordx4 v[126:129], v0, s[72:75], 0 offen offset:1024
	s_nop 0
	buffer_load_dword v0, off, s[88:91], 0 offset:96 ; 4-byte Folded Reload
	s_waitcnt vmcnt(0)
	v_add_u32_e32 v1, v226, v0
	buffer_load_dword v0, off, s[88:91], 0 offset:92 ; 4-byte Folded Reload
	s_waitcnt vmcnt(0)
	v_add_u32_e32 v0, v226, v0
	buffer_store_dword v1, off, s[88:91], 0 offset:284 ; 4-byte Folded Spill
	buffer_store_dword v0, off, s[88:91], 0 offset:280 ; 4-byte Folded Spill
	buffer_load_dwordx4 v[122:125], v1, s[72:75], 0 offen offset:1024
	buffer_load_dwordx4 v[118:121], v0, s[72:75], 0 offen offset:1024
	s_nop 0
	buffer_load_dword v0, off, s[88:91], 0 offset:88 ; 4-byte Folded Reload
	;; [unrolled: 11-line block ×11, first 2 shown]
	s_waitcnt vmcnt(0)
	v_add_u32_e32 v1, v226, v0
	buffer_load_dword v0, off, s[88:91], 0 offset:12 ; 4-byte Folded Reload
	s_waitcnt vmcnt(0)
	v_add_u32_e32 v0, v226, v0
	buffer_store_dword v1, off, s[88:91], 0 offset:436 ; 4-byte Folded Spill
	buffer_store_dword v0, off, s[88:91], 0 offset:432 ; 4-byte Folded Spill
	buffer_load_dwordx4 v[202:205], v1, s[76:79], 0 offen offset:1024
	buffer_load_dwordx4 v[206:209], v0, s[76:79], 0 offen offset:1024
	buffer_load_dword v255, off, s[88:91], 0 offset:244 ; 4-byte Folded Reload
	s_waitcnt vmcnt(0)
	v_add_u32_e32 v1, v226, v255
	buffer_load_dword v0, off, s[88:91], 0 offset:8 ; 4-byte Folded Reload
	s_waitcnt vmcnt(0)
	v_add_u32_e32 v0, v226, v0
	buffer_store_dword v0, off, s[88:91], 0 offset:440 ; 4-byte Folded Spill
	buffer_load_dwordx4 v[210:213], v1, s[76:79], 0 offen offset:1024
	buffer_load_dwordx4 v[214:217], v0, s[76:79], 0 offen offset:1024
	buffer_load_dword v254, off, s[88:91], 0 offset:240 ; 4-byte Folded Reload
	s_waitcnt vmcnt(0)
	v_add_u32_e32 v1, v226, v254
	buffer_load_dword v0, off, s[88:91], 0 offset:4 ; 4-byte Folded Reload
	s_waitcnt vmcnt(0)
	v_add_u32_e32 v0, v226, v0
	buffer_store_dword v0, off, s[88:91], 0 offset:444 ; 4-byte Folded Spill
	buffer_load_dwordx4 v[218:221], v1, s[76:79], 0 offen offset:1024
	buffer_load_dwordx4 v[222:225], v0, s[76:79], 0 offen offset:1024
	buffer_load_dword v245, off, s[88:91], 0 offset:236 ; 4-byte Folded Reload
	s_waitcnt vmcnt(0)
	v_add_u32_e32 v1, v226, v245
	buffer_load_dword v0, off, s[88:91], 0  ; 4-byte Folded Reload
	s_waitcnt vmcnt(0)
	v_add_u32_e32 v0, v226, v0
	buffer_store_dword v0, off, s[88:91], 0 offset:448 ; 4-byte Folded Spill
	buffer_load_dwordx4 v[2:5], v1, s[76:79], 0 offen offset:1024
	s_waitcnt vmcnt(0)
	buffer_store_dword v2, off, s[88:91], 0 offset:556 ; 4-byte Folded Spill
	s_nop 0
	buffer_store_dword v3, off, s[88:91], 0 offset:560 ; 4-byte Folded Spill
	buffer_store_dword v4, off, s[88:91], 0 offset:564 ; 4-byte Folded Spill
	buffer_store_dword v5, off, s[88:91], 0 offset:568 ; 4-byte Folded Spill
	buffer_load_dwordx4 v[0:3], v0, s[76:79], 0 offen offset:1024
	s_waitcnt vmcnt(0)
	buffer_store_dword v0, off, s[88:91], 0 offset:508 ; 4-byte Folded Spill
	s_nop 0
	buffer_store_dword v1, off, s[88:91], 0 offset:512 ; 4-byte Folded Spill
	buffer_store_dword v2, off, s[88:91], 0 offset:516 ; 4-byte Folded Spill
	;; [unrolled: 1-line block ×3, first 2 shown]
	buffer_load_dword v244, off, s[88:91], 0 offset:232 ; 4-byte Folded Reload
	buffer_load_dword v227, off, s[88:91], 0 offset:228 ; 4-byte Folded Reload
	s_waitcnt vmcnt(1)
	v_add_u32_e32 v0, v226, v244
	buffer_load_dwordx4 v[2:5], v0, s[76:79], 0 offen offset:1024
	s_waitcnt vmcnt(1)
	v_add_u32_e32 v1, v226, v227
	s_waitcnt vmcnt(0)
	buffer_store_dword v2, off, s[88:91], 0 offset:484 ; 4-byte Folded Spill
	s_nop 0
	buffer_store_dword v3, off, s[88:91], 0 offset:488 ; 4-byte Folded Spill
	buffer_store_dword v4, off, s[88:91], 0 offset:492 ; 4-byte Folded Spill
	;; [unrolled: 1-line block ×3, first 2 shown]
	buffer_load_dwordx4 v[0:3], v1, s[76:79], 0 offen offset:1024
	s_waitcnt vmcnt(0)
	buffer_store_dword v0, off, s[88:91], 0 offset:468 ; 4-byte Folded Spill
	s_nop 0
	buffer_store_dword v1, off, s[88:91], 0 offset:472 ; 4-byte Folded Spill
	buffer_store_dword v2, off, s[88:91], 0 offset:476 ; 4-byte Folded Spill
	;; [unrolled: 1-line block ×3, first 2 shown]
	s_waitcnt lgkmcnt(0)
	; wave barrier
	ds_read_b128 v[186:189], v12
	ds_read_b128 v[190:193], v12 offset:16384
	buffer_load_dword v0, off, s[88:91], 0 offset:108 ; 4-byte Folded Reload
	s_waitcnt vmcnt(0)
	ds_read_b128 v[194:197], v0
	ds_read_b128 v[198:201], v0 offset:16384
	buffer_load_dword v0, off, s[88:91], 0 offset:112 ; 4-byte Folded Reload
	s_waitcnt vmcnt(0)
	ds_read_b128 v[246:249], v0
	ds_read_b128 v[250:253], v0 offset:16384
	buffer_load_dword v0, off, s[88:91], 0 offset:116 ; 4-byte Folded Reload
	s_waitcnt vmcnt(0)
	ds_read_b128 v[228:231], v0
	ds_read_b128 v[232:235], v0 offset:16384
	buffer_load_dword v0, off, s[88:91], 0 offset:120 ; 4-byte Folded Reload
	s_waitcnt vmcnt(0)
	ds_read_b128 v[40:43], v0
	ds_read_b128 v[44:47], v0 offset:16384
	buffer_load_dword v0, off, s[88:91], 0 offset:124 ; 4-byte Folded Reload
	s_waitcnt vmcnt(0)
	ds_read_b128 v[182:185], v0
	ds_read_b128 v[178:181], v0 offset:16384
	buffer_load_dword v0, off, s[88:91], 0 offset:128 ; 4-byte Folded Reload
	s_waitcnt vmcnt(0)
	ds_read_b128 v[166:169], v0
	ds_read_b128 v[162:165], v0 offset:16384
	buffer_load_dword v0, off, s[88:91], 0 offset:132 ; 4-byte Folded Reload
	s_waitcnt vmcnt(0)
	ds_read_b128 v[150:153], v0
	ds_read_b128 v[146:149], v0 offset:16384
	buffer_load_dword v0, off, s[88:91], 0 offset:164 ; 4-byte Folded Reload
	s_waitcnt vmcnt(0)
	ds_read_b128 v[4:7], v0 offset:8192
	ds_read_b128 v[0:3], v0 offset:24576
	buffer_load_dword v8, off, s[88:91], 0 offset:160 ; 4-byte Folded Reload
	s_waitcnt vmcnt(0)
	ds_read_b128 v[12:15], v8 offset:8192
	ds_read_b128 v[8:11], v8 offset:24576
	buffer_load_dword v16, off, s[88:91], 0 offset:156 ; 4-byte Folded Reload
	s_waitcnt vmcnt(0)
	;; [unrolled: 4-line block ×7, first 2 shown]
	ds_read_b128 v[154:157], v57 offset:8192
	ds_read_b128 v[158:161], v57 offset:24576
	; sched_barrier mask(0x00000000)
	; wave barrier
	; sched_barrier mask(0x00000000)
	s_waitcnt lgkmcnt(14)
	v_mfma_f32_16x16x16f16 v[240:243], v[186:187], v[190:191], v[240:243]
	v_mfma_f32_16x16x16f16 v[240:243], v[188:189], v[192:193], v[240:243]
	; sched_barrier mask(0x00000000)
	s_setprio 1
	; sched_barrier mask(0x00000000)
	v_mfma_f32_16x16x16f16 v[236:239], v[186:187], v[0:1], v[236:239]
	v_mfma_f32_16x16x16f16 v[186:189], v[188:189], v[2:3], v[236:239]
	s_nop 7
	s_nop 1
	buffer_load_dword v236, off, s[88:91], 0 offset:592 ; 4-byte Folded Reload
	buffer_load_dword v237, off, s[88:91], 0 offset:596 ; 4-byte Folded Reload
	;; [unrolled: 1-line block ×4, first 2 shown]
	s_waitcnt lgkmcnt(12)
	v_mfma_f32_16x16x16f16 v[186:189], v[194:195], v[8:9], v[186:189]
	v_mfma_f32_16x16x16f16 v[186:189], v[196:197], v[10:11], v[186:189]
	s_waitcnt vmcnt(0)
	v_mfma_f32_16x16x16f16 v[236:239], v[4:5], v[190:191], v[236:239]
	v_mfma_f32_16x16x16f16 v[190:193], v[6:7], v[192:193], v[236:239]
	s_nop 7
	s_nop 1
	buffer_load_dword v236, off, s[88:91], 0 offset:608 ; 4-byte Folded Reload
	buffer_load_dword v237, off, s[88:91], 0 offset:612 ; 4-byte Folded Reload
	buffer_load_dword v238, off, s[88:91], 0 offset:616 ; 4-byte Folded Reload
	buffer_load_dword v239, off, s[88:91], 0 offset:620 ; 4-byte Folded Reload
	v_mfma_f32_16x16x16f16 v[190:193], v[12:13], v[198:199], v[190:193]
	v_mfma_f32_16x16x16f16 v[190:193], v[14:15], v[200:201], v[190:193]
	s_waitcnt vmcnt(0)
	v_mfma_f32_16x16x16f16 v[236:239], v[4:5], v[0:1], v[236:239]
	v_mfma_f32_16x16x16f16 v[0:3], v[6:7], v[2:3], v[236:239]
	;; [unrolled: 1-line block ×8, first 2 shown]
	s_waitcnt lgkmcnt(10)
	v_mfma_f32_16x16x16f16 v[8:11], v[246:247], v[16:17], v[186:189]
	v_mfma_f32_16x16x16f16 v[8:11], v[248:249], v[18:19], v[8:11]
	;; [unrolled: 1-line block ×6, first 2 shown]
	s_waitcnt lgkmcnt(8)
	v_mfma_f32_16x16x16f16 v[8:11], v[228:229], v[24:25], v[8:11]
	v_mfma_f32_16x16x16f16 v[8:11], v[230:231], v[26:27], v[8:11]
	v_mfma_f32_16x16x16f16 v[12:15], v[28:29], v[232:233], v[12:15]
	v_mfma_f32_16x16x16f16 v[4:7], v[40:41], v[44:45], v[4:7]
	v_mfma_f32_16x16x16f16 v[0:3], v[20:21], v[16:17], v[0:3]
	v_mfma_f32_16x16x16f16 v[12:15], v[30:31], v[234:235], v[12:15]
	v_mfma_f32_16x16x16f16 v[4:7], v[42:43], v[46:47], v[4:7]
	s_waitcnt lgkmcnt(6)
	v_mfma_f32_16x16x16f16 v[8:11], v[40:41], v[32:33], v[8:11]
	v_mfma_f32_16x16x16f16 v[0:3], v[22:23], v[18:19], v[0:3]
	v_mfma_f32_16x16x16f16 v[8:11], v[42:43], v[34:35], v[8:11]
	v_mfma_f32_16x16x16f16 v[12:15], v[36:37], v[44:45], v[12:15]
	v_mfma_f32_16x16x16f16 v[4:7], v[182:183], v[178:179], v[4:7]
	v_mfma_f32_16x16x16f16 v[0:3], v[28:29], v[24:25], v[0:3]
	v_mfma_f32_16x16x16f16 v[12:15], v[38:39], v[46:47], v[12:15]
	v_mfma_f32_16x16x16f16 v[4:7], v[184:185], v[180:181], v[4:7]
	s_waitcnt lgkmcnt(4)
	v_mfma_f32_16x16x16f16 v[8:11], v[182:183], v[48:49], v[8:11]
	;; [unrolled: 9-line block ×4, first 2 shown]
	v_mfma_f32_16x16x16f16 v[0:3], v[54:55], v[50:51], v[0:3]
	v_mfma_f32_16x16x16f16 v[162:165], v[152:153], v[160:161], v[4:7]
	;; [unrolled: 1-line block ×6, first 2 shown]
	; sched_barrier mask(0x00000000)
	s_waitcnt lgkmcnt(0)
	; wave barrier
	; sched_barrier mask(0x00000000)
	v_mfma_f32_16x16x16f16 v[0:3], v[154:155], v[158:159], v[0:3]
	v_mfma_f32_16x16x16f16 v[146:149], v[156:157], v[160:161], v[0:3]
	; sched_barrier mask(0x00000000)
	s_setprio 0
	; sched_barrier mask(0x00000000)
	v_cndmask_b32_e64 v53, 0, v75, s[24:25]
	buffer_load_dword v75, off, s[88:91], 0 offset:224 ; 4-byte Folded Reload
	v_cndmask_b32_e64 v52, 0, v74, s[24:25]
	buffer_load_dword v74, off, s[88:91], 0 offset:464 ; 4-byte Folded Reload
	;; [unrolled: 2-line block ×3, first 2 shown]
	s_nop 2
	v_cndmask_b32_e32 v3, 0, v133, vcc
	v_cndmask_b32_e32 v2, 0, v132, vcc
	;; [unrolled: 1-line block ×4, first 2 shown]
	v_cndmask_b32_e64 v7, 0, v129, s[0:1]
	v_cndmask_b32_e64 v6, 0, v128, s[0:1]
	;; [unrolled: 1-line block ×57, first 2 shown]
	s_add_i32 s71, s71, 2
	s_cmp_lt_i32 s71, s87
	s_waitcnt vmcnt(2)
	v_lshlrev_b32_e32 v57, 1, v75
	s_waitcnt vmcnt(1)
	v_add3_u32 v74, v74, s70, v57
	ds_write_b128 v74, v[0:3]
	s_waitcnt vmcnt(0)
	v_add_u32_e32 v0, v74, v101
	ds_write_b128 v0, v[4:7] offset:512
	buffer_load_dword v99, off, s[88:91], 0 offset:172 ; 4-byte Folded Reload
	buffer_load_dword v100, off, s[88:91], 0 offset:168 ; 4-byte Folded Reload
	;; [unrolled: 1-line block ×5, first 2 shown]
	v_cndmask_b32_e64 v3, 0, v65, s[30:31]
	v_cndmask_b32_e64 v2, 0, v64, s[30:31]
	v_cndmask_b32_e64 v7, 0, v61, s[34:35]
	v_cndmask_b32_e64 v6, 0, v60, s[34:35]
	v_cndmask_b32_e64 v5, 0, v59, s[34:35]
	v_cndmask_b32_e64 v4, 0, v58, s[34:35]
	s_waitcnt vmcnt(2)
	v_add3_u32 v1, v1, v99, v100
	s_waitcnt vmcnt(1)
	v_add3_u32 v0, v0, s70, v81
	ds_write_b128 v0, v[8:11] offset:512
	s_waitcnt vmcnt(0)
	v_add3_u32 v0, v0, s70, v83
	ds_write_b128 v0, v[12:15] offset:512
	buffer_load_dword v74, off, s[88:91], 0 offset:180 ; 4-byte Folded Reload
	buffer_load_dword v82, off, s[88:91], 0 offset:176 ; 4-byte Folded Reload
	buffer_load_dword v84, off, s[88:91], 0 offset:572 ; 4-byte Folded Reload
	buffer_load_dword v86, off, s[88:91], 0 offset:576 ; 4-byte Folded Reload
	v_cndmask_b32_e64 v11, 0, v113, s[36:37]
	v_cndmask_b32_e64 v10, 0, v112, s[36:37]
	v_cndmask_b32_e64 v9, 0, v111, s[36:37]
	v_cndmask_b32_e64 v8, 0, v110, s[36:37]
	v_cndmask_b32_e64 v15, 0, v137, s[38:39]
	v_cndmask_b32_e64 v14, 0, v136, s[38:39]
	v_cndmask_b32_e64 v13, 0, v135, s[38:39]
	v_cndmask_b32_e64 v12, 0, v134, s[38:39]
	s_waitcnt vmcnt(2)
	v_add3_u32 v1, v1, v82, v74
	s_waitcnt vmcnt(1)
	v_add3_u32 v0, v0, s70, v84
	ds_write_b128 v0, v[16:19] offset:512
	s_waitcnt vmcnt(0)
	v_add3_u32 v0, v0, s70, v86
	ds_write_b128 v0, v[20:23] offset:512
	buffer_load_dword v76, off, s[88:91], 0 offset:188 ; 4-byte Folded Reload
	buffer_load_dword v85, off, s[88:91], 0 offset:184 ; 4-byte Folded Reload
	buffer_load_dword v87, off, s[88:91], 0 offset:548 ; 4-byte Folded Reload
	buffer_load_dword v89, off, s[88:91], 0 offset:552 ; 4-byte Folded Reload
	v_cndmask_b32_e64 v19, 0, v141, s[40:41]
	v_cndmask_b32_e64 v18, 0, v140, s[40:41]
	;; [unrolled: 20-line block ×4, first 2 shown]
	v_cndmask_b32_e64 v33, 0, v211, s[48:49]
	v_cndmask_b32_e64 v32, 0, v210, s[48:49]
	;; [unrolled: 1-line block ×6, first 2 shown]
	s_waitcnt vmcnt(2)
	v_add3_u32 v1, v1, v91, v78
	s_waitcnt vmcnt(1)
	v_add3_u32 v0, v0, s70, v93
	ds_write_b128 v0, v[40:43] offset:512
	s_waitcnt vmcnt(0)
	v_add3_u32 v0, v0, s70, v95
	ds_write_b128 v0, v[44:47] offset:512
	buffer_load_dword v79, off, s[88:91], 0 offset:212 ; 4-byte Folded Reload
	buffer_load_dword v94, off, s[88:91], 0 offset:208 ; 4-byte Folded Reload
	;; [unrolled: 1-line block ×6, first 2 shown]
	v_cndmask_b32_e64 v43, 0, v221, s[52:53]
	v_cndmask_b32_e64 v42, 0, v220, s[52:53]
	;; [unrolled: 1-line block ×8, first 2 shown]
	s_waitcnt vmcnt(4)
	v_add3_u32 v1, v1, v94, v79
	s_waitcnt vmcnt(3)
	v_add3_u32 v0, v0, s70, v96
	ds_write_b128 v0, v[48:51] offset:512
	s_waitcnt vmcnt(2)
	v_add3_u32 v0, v0, s70, v97
	ds_write_b128 v0, v[52:55] offset:512
	;; [unrolled: 3-line block ×3, first 2 shown]
	buffer_load_dword v70, off, s[88:91], 0 offset:504 ; 4-byte Folded Reload
	s_waitcnt vmcnt(0)
	v_add3_u32 v0, v0, s70, v70
	ds_write_b128 v0, v[66:69] offset:512
	buffer_load_dword v66, off, s[88:91], 0 offset:220 ; 4-byte Folded Reload
	v_add3_u32 v1, v1, v56, v80
	v_cndmask_b32_e64 v0, 0, v62, s[30:31]
	buffer_load_dword v48, off, s[88:91], 0 offset:556 ; 4-byte Folded Reload
	buffer_load_dword v49, off, s[88:91], 0 offset:560 ; 4-byte Folded Reload
	;; [unrolled: 1-line block ×12, first 2 shown]
	s_waitcnt vmcnt(12)
	v_add3_u32 v166, v1, v66, v75
	v_cndmask_b32_e64 v1, 0, v63, s[30:31]
	buffer_load_dword v62, off, s[88:91], 0 offset:468 ; 4-byte Folded Reload
	buffer_load_dword v63, off, s[88:91], 0 offset:472 ; 4-byte Folded Reload
	;; [unrolled: 1-line block ×5, first 2 shown]
	s_waitcnt vmcnt(13)
	v_cndmask_b32_e64 v51, 0, v51, s[56:57]
	v_cndmask_b32_e64 v50, 0, v50, s[56:57]
	v_cndmask_b32_e64 v49, 0, v49, s[56:57]
	v_cndmask_b32_e64 v48, 0, v48, s[56:57]
	s_waitcnt vmcnt(9)
	v_cndmask_b32_e64 v55, 0, v55, s[58:59]
	v_cndmask_b32_e64 v54, 0, v54, s[58:59]
	v_cndmask_b32_e64 v53, 0, v53, s[58:59]
	v_cndmask_b32_e64 v52, 0, v52, s[58:59]
	;; [unrolled: 5-line block ×3, first 2 shown]
	s_waitcnt vmcnt(1)
	v_cndmask_b32_e64 v65, 0, v65, s[62:63]
	s_waitcnt vmcnt(0)
	v_add3_u32 v57, v67, s70, v57
	ds_write_b128 v57, v[0:3]
	v_add_u32_e32 v0, v57, v101
	ds_write_b128 v0, v[4:7] offset:512
	v_add3_u32 v0, v0, s70, v81
	ds_write_b128 v0, v[8:11] offset:512
	v_add3_u32 v0, v0, s70, v83
	;; [unrolled: 2-line block ×7, first 2 shown]
	buffer_load_dword v1, off, s[88:91], 0 offset:452 ; 4-byte Folded Reload
	ds_write_b128 v0, v[32:35] offset:512
	v_add3_u32 v0, v0, s70, v92
	ds_write_b128 v0, v[36:39] offset:512
	v_add3_u32 v0, v0, s70, v93
	;; [unrolled: 2-line block ×6, first 2 shown]
	v_cndmask_b32_e64 v64, 0, v64, s[62:63]
	v_cndmask_b32_e64 v63, 0, v63, s[62:63]
	;; [unrolled: 1-line block ×3, first 2 shown]
	ds_write_b128 v0, v[58:61] offset:512
	v_add3_u32 v0, v0, s70, v70
	ds_write_b128 v0, v[62:65] offset:512
	buffer_load_dword v0, off, s[88:91], 0 offset:264 ; 4-byte Folded Reload
	s_waitcnt vmcnt(1)
	v_add3_u32 v1, v1, v99, v100
	v_add3_u32 v1, v1, v82, v74
	;; [unrolled: 1-line block ×8, first 2 shown]
	s_waitcnt vmcnt(0)
	buffer_load_dwordx4 v[74:77], v0, s[72:75], 0 offen offset:1536
	s_nop 0
	buffer_load_dword v0, off, s[88:91], 0 offset:248 ; 4-byte Folded Reload
	s_waitcnt vmcnt(0)
	buffer_load_dwordx4 v[70:73], v0, s[72:75], 0 offen offset:1536
	s_nop 0
	buffer_load_dword v0, off, s[88:91], 0 offset:284 ; 4-byte Folded Reload
	;; [unrolled: 4-line block ×18, first 2 shown]
	s_waitcnt vmcnt(0)
	buffer_load_dwordx4 v[0:3], v0, s[76:79], 0 offen offset:1536
	s_waitcnt vmcnt(0)
	buffer_store_dword v0, off, s[88:91], 0 offset:248 ; 4-byte Folded Spill
	s_nop 0
	buffer_store_dword v1, off, s[88:91], 0 offset:252 ; 4-byte Folded Spill
	buffer_store_dword v2, off, s[88:91], 0 offset:256 ; 4-byte Folded Spill
	;; [unrolled: 1-line block ×3, first 2 shown]
	buffer_load_dword v0, off, s[88:91], 0 offset:416 ; 4-byte Folded Reload
	s_waitcnt vmcnt(0)
	buffer_load_dwordx4 v[0:3], v0, s[76:79], 0 offen offset:1536
	s_waitcnt vmcnt(0)
	buffer_store_dword v0, off, s[88:91], 0 offset:264 ; 4-byte Folded Spill
	s_nop 0
	buffer_store_dword v1, off, s[88:91], 0 offset:268 ; 4-byte Folded Spill
	buffer_store_dword v2, off, s[88:91], 0 offset:272 ; 4-byte Folded Spill
	;; [unrolled: 1-line block ×3, first 2 shown]
	buffer_load_dword v0, off, s[88:91], 0 offset:428 ; 4-byte Folded Reload
	s_waitcnt vmcnt(0)
	buffer_load_dwordx4 v[30:33], v0, s[76:79], 0 offen offset:1536
	s_nop 0
	buffer_load_dword v0, off, s[88:91], 0 offset:424 ; 4-byte Folded Reload
	s_waitcnt vmcnt(0)
	buffer_load_dwordx4 v[34:37], v0, s[76:79], 0 offen offset:1536
	s_nop 0
	;; [unrolled: 4-line block ×3, first 2 shown]
	buffer_load_dword v0, off, s[88:91], 0 offset:432 ; 4-byte Folded Reload
	s_waitcnt vmcnt(0)
	buffer_load_dwordx4 v[130:133], v0, s[76:79], 0 offen offset:1536
	v_add_u32_e32 v0, v226, v255
	buffer_load_dwordx4 v[126:129], v0, s[76:79], 0 offen offset:1536
	s_nop 0
	buffer_load_dword v0, off, s[88:91], 0 offset:440 ; 4-byte Folded Reload
	v_add_u32_e32 v255, 0x400, v255
	s_waitcnt vmcnt(0)
	buffer_load_dwordx4 v[122:125], v0, s[76:79], 0 offen offset:1536
	v_add_u32_e32 v0, v226, v254
	buffer_load_dwordx4 v[82:85], v0, s[76:79], 0 offen offset:1536
	s_nop 0
	buffer_load_dword v0, off, s[88:91], 0 offset:444 ; 4-byte Folded Reload
	v_add_u32_e32 v254, 0x400, v254
	s_waitcnt vmcnt(0)
	buffer_load_dwordx4 v[78:81], v0, s[76:79], 0 offen offset:1536
	v_add_u32_e32 v0, v226, v245
	buffer_load_dwordx4 v[52:55], v0, s[76:79], 0 offen offset:1536
	s_nop 0
	buffer_load_dword v0, off, s[88:91], 0 offset:448 ; 4-byte Folded Reload
	v_add_u32_e32 v245, 0x400, v245
	s_waitcnt vmcnt(0)
	buffer_load_dwordx4 v[58:61], v0, s[76:79], 0 offen offset:1536
	v_add_u32_e32 v0, v226, v244
	buffer_load_dwordx4 v[62:65], v0, s[76:79], 0 offen offset:1536
	v_add_u32_e32 v0, v226, v227
	;; [unrolled: 2-line block ×3, first 2 shown]
	buffer_load_dword v0, off, s[88:91], 0  ; 4-byte Folded Reload
	v_add_u32_e32 v244, 0x400, v244
	buffer_store_dword v227, off, s[88:91], 0 offset:228 ; 4-byte Folded Spill
	buffer_store_dword v244, off, s[88:91], 0 offset:232 ; 4-byte Folded Spill
	;; [unrolled: 1-line block ×5, first 2 shown]
	s_waitcnt vmcnt(5)
	v_add_u32_e32 v0, 0x400, v0
	buffer_store_dword v0, off, s[88:91], 0 ; 4-byte Folded Spill
	buffer_load_dword v0, off, s[88:91], 0 offset:4 ; 4-byte Folded Reload
	s_waitcnt vmcnt(0)
	v_add_u32_e32 v0, 0x400, v0
	buffer_store_dword v0, off, s[88:91], 0 offset:4 ; 4-byte Folded Spill
	buffer_load_dword v0, off, s[88:91], 0 offset:8 ; 4-byte Folded Reload
	s_waitcnt vmcnt(0)
	v_add_u32_e32 v0, 0x400, v0
	buffer_store_dword v0, off, s[88:91], 0 offset:8 ; 4-byte Folded Spill
	buffer_load_dword v0, off, s[88:91], 0 offset:12 ; 4-byte Folded Reload
	s_waitcnt vmcnt(0)
	v_add_u32_e32 v0, 0x400, v0
	buffer_store_dword v0, off, s[88:91], 0 offset:12 ; 4-byte Folded Spill
	buffer_load_dword v0, off, s[88:91], 0 offset:16 ; 4-byte Folded Reload
	s_waitcnt vmcnt(0)
	v_add_u32_e32 v0, 0x400, v0
	buffer_store_dword v0, off, s[88:91], 0 offset:16 ; 4-byte Folded Spill
	buffer_load_dword v0, off, s[88:91], 0 offset:20 ; 4-byte Folded Reload
	s_waitcnt vmcnt(0)
	v_add_u32_e32 v0, 0x400, v0
	buffer_store_dword v0, off, s[88:91], 0 offset:20 ; 4-byte Folded Spill
	buffer_load_dword v0, off, s[88:91], 0 offset:24 ; 4-byte Folded Reload
	s_waitcnt vmcnt(0)
	v_add_u32_e32 v0, 0x400, v0
	buffer_store_dword v0, off, s[88:91], 0 offset:24 ; 4-byte Folded Spill
	buffer_load_dword v0, off, s[88:91], 0 offset:28 ; 4-byte Folded Reload
	s_waitcnt vmcnt(0)
	v_add_u32_e32 v0, 0x400, v0
	buffer_store_dword v0, off, s[88:91], 0 offset:28 ; 4-byte Folded Spill
	buffer_load_dword v0, off, s[88:91], 0 offset:32 ; 4-byte Folded Reload
	s_waitcnt vmcnt(0)
	v_add_u32_e32 v0, 0x400, v0
	buffer_store_dword v0, off, s[88:91], 0 offset:32 ; 4-byte Folded Spill
	buffer_load_dword v0, off, s[88:91], 0 offset:36 ; 4-byte Folded Reload
	s_waitcnt vmcnt(0)
	v_add_u32_e32 v0, 0x400, v0
	buffer_store_dword v0, off, s[88:91], 0 offset:36 ; 4-byte Folded Spill
	buffer_load_dword v0, off, s[88:91], 0 offset:40 ; 4-byte Folded Reload
	s_waitcnt vmcnt(0)
	v_add_u32_e32 v0, 0x400, v0
	buffer_store_dword v0, off, s[88:91], 0 offset:40 ; 4-byte Folded Spill
	buffer_load_dword v0, off, s[88:91], 0 offset:44 ; 4-byte Folded Reload
	s_waitcnt vmcnt(0)
	v_add_u32_e32 v0, 0x400, v0
	buffer_store_dword v0, off, s[88:91], 0 offset:44 ; 4-byte Folded Spill
	buffer_load_dword v0, off, s[88:91], 0 offset:48 ; 4-byte Folded Reload
	s_waitcnt vmcnt(0)
	v_add_u32_e32 v0, 0x400, v0
	buffer_store_dword v0, off, s[88:91], 0 offset:48 ; 4-byte Folded Spill
	buffer_load_dword v0, off, s[88:91], 0 offset:52 ; 4-byte Folded Reload
	s_waitcnt vmcnt(0)
	v_add_u32_e32 v0, 0x400, v0
	buffer_store_dword v0, off, s[88:91], 0 offset:52 ; 4-byte Folded Spill
	buffer_load_dword v0, off, s[88:91], 0 offset:56 ; 4-byte Folded Reload
	s_waitcnt vmcnt(0)
	v_add_u32_e32 v0, 0x400, v0
	buffer_store_dword v0, off, s[88:91], 0 offset:56 ; 4-byte Folded Spill
	buffer_load_dword v0, off, s[88:91], 0 offset:60 ; 4-byte Folded Reload
	s_waitcnt vmcnt(0)
	v_add_u32_e32 v0, 0x400, v0
	buffer_store_dword v0, off, s[88:91], 0 offset:60 ; 4-byte Folded Spill
	buffer_load_dword v0, off, s[88:91], 0 offset:64 ; 4-byte Folded Reload
	s_waitcnt vmcnt(0)
	v_add_u32_e32 v0, 0x400, v0
	buffer_store_dword v0, off, s[88:91], 0 offset:64 ; 4-byte Folded Spill
	buffer_load_dword v0, off, s[88:91], 0 offset:68 ; 4-byte Folded Reload
	s_waitcnt vmcnt(0)
	v_add_u32_e32 v0, 0x400, v0
	buffer_store_dword v0, off, s[88:91], 0 offset:68 ; 4-byte Folded Spill
	buffer_load_dword v0, off, s[88:91], 0 offset:72 ; 4-byte Folded Reload
	s_waitcnt vmcnt(0)
	v_add_u32_e32 v0, 0x400, v0
	buffer_store_dword v0, off, s[88:91], 0 offset:72 ; 4-byte Folded Spill
	buffer_load_dword v0, off, s[88:91], 0 offset:76 ; 4-byte Folded Reload
	s_waitcnt vmcnt(0)
	v_add_u32_e32 v0, 0x400, v0
	buffer_store_dword v0, off, s[88:91], 0 offset:76 ; 4-byte Folded Spill
	buffer_load_dword v0, off, s[88:91], 0 offset:80 ; 4-byte Folded Reload
	s_waitcnt vmcnt(0)
	v_add_u32_e32 v0, 0x400, v0
	buffer_store_dword v0, off, s[88:91], 0 offset:80 ; 4-byte Folded Spill
	buffer_load_dword v0, off, s[88:91], 0 offset:84 ; 4-byte Folded Reload
	s_waitcnt vmcnt(0)
	v_add_u32_e32 v0, 0x400, v0
	buffer_store_dword v0, off, s[88:91], 0 offset:84 ; 4-byte Folded Spill
	buffer_load_dword v0, off, s[88:91], 0 offset:88 ; 4-byte Folded Reload
	s_waitcnt vmcnt(0)
	v_add_u32_e32 v0, 0x400, v0
	buffer_store_dword v0, off, s[88:91], 0 offset:88 ; 4-byte Folded Spill
	buffer_load_dword v0, off, s[88:91], 0 offset:92 ; 4-byte Folded Reload
	s_waitcnt vmcnt(0)
	v_add_u32_e32 v0, 0x400, v0
	buffer_store_dword v0, off, s[88:91], 0 offset:92 ; 4-byte Folded Spill
	buffer_load_dword v0, off, s[88:91], 0 offset:96 ; 4-byte Folded Reload
	s_waitcnt vmcnt(0)
	v_add_u32_e32 v0, 0x400, v0
	buffer_store_dword v0, off, s[88:91], 0 offset:96 ; 4-byte Folded Spill
	buffer_load_dword v0, off, s[88:91], 0 offset:100 ; 4-byte Folded Reload
	s_waitcnt vmcnt(0)
	v_add_u32_e32 v0, 0x400, v0
	buffer_store_dword v0, off, s[88:91], 0 offset:100 ; 4-byte Folded Spill
	buffer_load_dword v0, off, s[88:91], 0 offset:104 ; 4-byte Folded Reload
	s_waitcnt vmcnt(0)
	v_add_u32_e32 v0, 0x400, v0
	buffer_store_dword v0, off, s[88:91], 0 offset:104 ; 4-byte Folded Spill
	s_cbranch_scc1 .LBB3_12
; %bb.13:
	s_waitcnt lgkmcnt(0)
	; wave barrier
	buffer_load_dword v0, off, s[88:91], 0 offset:624 ; 4-byte Folded Reload
	s_lshl_b64 s[0:1], s[82:83], 1
	s_add_u32 s4, s80, s0
	s_mul_i32 s85, s85, s69
	s_mul_hi_u32 s2, s84, s69
	s_addc_u32 s5, s81, s1
	s_add_i32 s2, s2, s85
	s_waitcnt vmcnt(0)
	ds_read_b128 v[46:49], v0
	ds_read_b128 v[50:53], v0 offset:16384
	buffer_load_dword v0, off, s[88:91], 0 offset:108 ; 4-byte Folded Reload
	s_waitcnt vmcnt(0)
	ds_read_b128 v[54:57], v0
	ds_read_b128 v[58:61], v0 offset:16384
	buffer_load_dword v0, off, s[88:91], 0 offset:112 ; 4-byte Folded Reload
	;; [unrolled: 4-line block ×8, first 2 shown]
	s_waitcnt vmcnt(0)
	ds_read_b128 v[86:89], v0 offset:8192
	ds_read_b128 v[90:93], v0 offset:24576
	buffer_load_dword v0, off, s[88:91], 0 offset:160 ; 4-byte Folded Reload
	s_waitcnt vmcnt(0)
	ds_read_b128 v[94:97], v0 offset:8192
	ds_read_b128 v[98:101], v0 offset:24576
	buffer_load_dword v0, off, s[88:91], 0 offset:156 ; 4-byte Folded Reload
	;; [unrolled: 4-line block ×7, first 2 shown]
	s_waitcnt vmcnt(0)
	ds_read_b128 v[10:13], v0 offset:8192
	ds_read_b128 v[14:17], v0 offset:24576
	; sched_barrier mask(0x00000000)
	; wave barrier
	; sched_barrier mask(0x00000000)
	s_waitcnt lgkmcnt(14)
	v_mfma_f32_16x16x16f16 v[130:133], v[46:47], v[50:51], v[182:185]
	v_mfma_f32_16x16x16f16 v[130:133], v[48:49], v[52:53], v[130:133]
	; sched_barrier mask(0x00000000)
	s_setprio 1
	; sched_barrier mask(0x00000000)
	v_mfma_f32_16x16x16f16 v[134:137], v[46:47], v[90:91], v[162:165]
	v_mfma_f32_16x16x16f16 v[46:49], v[48:49], v[92:93], v[134:137]
	v_mfma_f32_16x16x16f16 v[134:137], v[86:87], v[50:51], v[150:153]
	v_mfma_f32_16x16x16f16 v[50:53], v[88:89], v[52:53], v[134:137]
	v_mfma_f32_16x16x16f16 v[134:137], v[86:87], v[90:91], v[146:149]
	v_mfma_f32_16x16x16f16 v[86:89], v[88:89], v[92:93], v[134:137]
	v_mfma_f32_16x16x16f16 v[90:93], v[54:55], v[58:59], v[130:133]
	s_waitcnt lgkmcnt(12)
	v_mfma_f32_16x16x16f16 v[46:49], v[54:55], v[98:99], v[46:49]
	v_mfma_f32_16x16x16f16 v[90:93], v[56:57], v[60:61], v[90:93]
	v_mfma_f32_16x16x16f16 v[46:49], v[56:57], v[100:101], v[46:49]
	v_mfma_f32_16x16x16f16 v[50:53], v[94:95], v[58:59], v[50:53]
	v_mfma_f32_16x16x16f16 v[50:53], v[96:97], v[60:61], v[50:53]
	v_mfma_f32_16x16x16f16 v[54:57], v[94:95], v[98:99], v[86:89]
	v_mfma_f32_16x16x16f16 v[58:61], v[62:63], v[66:67], v[90:93]
	s_waitcnt lgkmcnt(10)
	v_mfma_f32_16x16x16f16 v[46:49], v[62:63], v[106:107], v[46:49]
	v_mfma_f32_16x16x16f16 v[54:57], v[96:97], v[100:101], v[54:57]
	v_mfma_f32_16x16x16f16 v[58:61], v[64:65], v[68:69], v[58:61]
	v_mfma_f32_16x16x16f16 v[46:49], v[64:65], v[108:109], v[46:49]
	v_mfma_f32_16x16x16f16 v[50:53], v[102:103], v[66:67], v[50:53]
	v_mfma_f32_16x16x16f16 v[50:53], v[104:105], v[68:69], v[50:53]
	v_mfma_f32_16x16x16f16 v[54:57], v[102:103], v[106:107], v[54:57]
	v_mfma_f32_16x16x16f16 v[58:61], v[70:71], v[74:75], v[58:61]
	s_waitcnt lgkmcnt(8)
	v_mfma_f32_16x16x16f16 v[46:49], v[70:71], v[114:115], v[46:49]
	;; [unrolled: 9-line block ×4, first 2 shown]
	v_mfma_f32_16x16x16f16 v[54:57], v[120:121], v[124:125], v[54:57]
	v_mfma_f32_16x16x16f16 v[58:61], v[40:41], v[36:37], v[58:61]
	;; [unrolled: 1-line block ×8, first 2 shown]
	s_waitcnt lgkmcnt(2)
	v_mfma_f32_16x16x16f16 v[38:41], v[22:23], v[30:31], v[38:41]
	v_mfma_f32_16x16x16f16 v[34:37], v[26:27], v[18:19], v[34:37]
	;; [unrolled: 1-line block ×8, first 2 shown]
	s_waitcnt lgkmcnt(0)
	v_mfma_f32_16x16x16f16 v[22:25], v[6:7], v[14:15], v[22:25]
	v_mfma_f32_16x16x16f16 v[0:3], v[10:11], v[2:3], v[18:21]
	v_mfma_f32_16x16x16f16 v[30:33], v[8:9], v[4:5], v[30:33]
	v_mfma_f32_16x16x16f16 v[6:9], v[8:9], v[16:17], v[22:25]
	v_mfma_f32_16x16x16f16 v[0:3], v[12:13], v[4:5], v[0:3]
	; sched_barrier mask(0x00000000)
	s_waitcnt lgkmcnt(0)
	; wave barrier
	; sched_barrier mask(0x00000000)
	v_mfma_f32_16x16x16f16 v[18:21], v[10:11], v[14:15], v[26:29]
	v_mfma_f32_16x16x16f16 v[10:13], v[12:13], v[16:17], v[18:21]
	; sched_barrier mask(0x00000000)
	s_setprio 0
	; sched_barrier mask(0x00000000)
	buffer_load_dword v4, off, s[88:91], 0 offset:692 ; 4-byte Folded Reload
	buffer_load_dword v5, off, s[88:91], 0 offset:700 ; 4-byte Folded Reload
	s_nop 6
	v_cvt_f16_f32_e32 v20, v32
	v_cvt_f16_f32_e32 v21, v33
	s_add_i32 s2, s65, s2
	s_lshl_b32 s6, s2, 1
	s_mov_b32 s7, 0x20000
	v_cvt_f16_f32_e32 v0, v0
	s_lshl_b32 s8, s69, 4
	v_cvt_f16_f32_e32 v1, v1
	v_cvt_f16_f32_e32 v2, v2
	;; [unrolled: 1-line block ×3, first 2 shown]
	s_waitcnt vmcnt(1)
	v_lshrrev_b32_e32 v16, 2, v4
	s_waitcnt vmcnt(0)
	v_and_or_b32 v5, v4, 15, v5
	buffer_load_dword v4, off, s[88:91], 0 offset:696 ; 4-byte Folded Reload
	v_lshl_or_b32 v18, s33, 5, v16
	v_lshlrev_b32_e32 v19, 1, v5
	s_waitcnt lgkmcnt(0)
	; wave barrier
	s_waitcnt vmcnt(0)
	v_and_b32_e32 v17, 12, v4
	v_or_b32_e32 v4, s66, v17
	v_mad_u64_u32 v[14:15], s[0:1], v18, s69, v[4:5]
	v_cvt_f16_f32_e32 v15, v30
	v_cvt_f16_f32_e32 v5, v31
	ds_write_b16 v19, v15
	ds_write_b16 v19, v5 offset:32
	ds_write_b16 v19, v20 offset:64
	ds_write_b16 v19, v21 offset:96
	v_lshlrev_b32_e32 v5, 1, v17
	v_lshl_or_b32 v15, v16, 5, v5
	s_waitcnt lgkmcnt(0)
	; wave barrier
	ds_read_b64 v[16:17], v15
	v_cmp_gt_i32_e32 vcc, s65, v4
	v_cmp_gt_i32_e64 s[0:1], s64, v18
	v_bfrev_b32_e32 v20, 1
	s_and_b64 s[2:3], s[0:1], vcc
	v_cndmask_b32_e64 v5, v20, 0, s[2:3]
	v_lshl_add_u32 v5, v14, 1, v5
	s_waitcnt lgkmcnt(0)
	buffer_store_dwordx2 v[16:17], v5, s[4:7], 0 offen
	v_or_b32_e32 v16, 16, v4
	v_cvt_f16_f32_e32 v4, v6
	v_cvt_f16_f32_e32 v5, v7
	;; [unrolled: 1-line block ×4, first 2 shown]
	s_waitcnt lgkmcnt(0)
	; wave barrier
	ds_write_b16 v19, v4
	ds_write_b16 v19, v5 offset:32
	ds_write_b16 v19, v6 offset:64
	;; [unrolled: 1-line block ×3, first 2 shown]
	s_waitcnt lgkmcnt(0)
	; wave barrier
	ds_read_b64 v[4:5], v15
	v_cmp_gt_i32_e64 s[2:3], s65, v16
	s_and_b64 s[0:1], s[0:1], s[2:3]
	v_add_u32_e32 v17, 16, v14
	v_cndmask_b32_e64 v6, v20, 0, s[0:1]
	v_lshl_add_u32 v6, v17, 1, v6
	s_waitcnt lgkmcnt(0)
	buffer_store_dwordx2 v[4:5], v6, s[4:7], 0 offen
	v_cvt_f16_f32_e32 v4, v10
	v_cvt_f16_f32_e32 v5, v11
	;; [unrolled: 1-line block ×4, first 2 shown]
	v_or_b32_e32 v6, 16, v18
	s_waitcnt lgkmcnt(0)
	; wave barrier
	ds_write_b16 v19, v4
	ds_write_b16 v19, v5 offset:32
	ds_write_b16 v19, v8 offset:64
	;; [unrolled: 1-line block ×3, first 2 shown]
	s_waitcnt lgkmcnt(0)
	; wave barrier
	ds_read_b64 v[4:5], v15
	v_cmp_gt_i32_e64 s[0:1], s64, v6
	s_and_b64 s[2:3], s[0:1], s[2:3]
	v_add_u32_e32 v7, s8, v17
	v_cndmask_b32_e64 v6, v20, 0, s[2:3]
	v_lshl_add_u32 v6, v7, 1, v6
	s_waitcnt lgkmcnt(0)
	buffer_store_dwordx2 v[4:5], v6, s[4:7], 0 offen
	s_waitcnt lgkmcnt(0)
	; wave barrier
	ds_write_b16 v19, v0
	ds_write_b16 v19, v1 offset:32
	ds_write_b16 v19, v2 offset:64
	;; [unrolled: 1-line block ×3, first 2 shown]
	s_waitcnt lgkmcnt(0)
	; wave barrier
	ds_read_b64 v[0:1], v15
	s_and_b64 s[0:1], vcc, s[0:1]
	v_add_u32_e32 v2, s8, v14
	v_cndmask_b32_e64 v3, v20, 0, s[0:1]
	v_lshl_add_u32 v2, v2, 1, v3
	s_waitcnt lgkmcnt(0)
	buffer_store_dwordx2 v[0:1], v2, s[4:7], 0 offen
	s_endpgm
	.section	.rodata,"a",@progbits
	.p2align	6, 0x0
	.amdhsa_kernel _ZN2ck27kernel_gemm_xdl_cshuffle_v3INS_28GridwiseGemm_xdl_cshuffle_v3INS_13tensor_layout4gemm8RowMajorENS3_11ColumnMajorES4_DF16_DF16_fDF16_DF16_NS_16tensor_operation12element_wise11PassThroughES8_S8_LNS6_6device18GemmSpecializationE4ELi64ELi32ELi32ELi256ELi8ELi8ELi16ELi16ELi2ELi2ENS_8SequenceIJLi32ELi2ELi1EEEENSB_IJLi1ELi0ELi2EEEESD_Li2ELi8ELi8ELb0ELi0ESC_SD_SD_Li2ELi8ELi8ELb0ELi0ELi1ELi1ENSB_IJLi1ELi16ELi1ELi4EEEELi4ELNS_26BlockGemmPipelineSchedulerE1ELNS_24BlockGemmPipelineVersionE1EDF16_DF16_Lb0ELb0ELb0ELi0ELb0EEELb1ELNS_25InMemoryDataOperationEnumE0ELi2ELNS_10TailNumberE2EEEvNT_8ArgumentE
		.amdhsa_group_segment_fixed_size 32768
		.amdhsa_private_segment_fixed_size 708
		.amdhsa_kernarg_size 112
		.amdhsa_user_sgpr_count 6
		.amdhsa_user_sgpr_private_segment_buffer 1
		.amdhsa_user_sgpr_dispatch_ptr 0
		.amdhsa_user_sgpr_queue_ptr 0
		.amdhsa_user_sgpr_kernarg_segment_ptr 1
		.amdhsa_user_sgpr_dispatch_id 0
		.amdhsa_user_sgpr_flat_scratch_init 0
		.amdhsa_user_sgpr_kernarg_preload_length 0
		.amdhsa_user_sgpr_kernarg_preload_offset 0
		.amdhsa_user_sgpr_private_segment_size 0
		.amdhsa_uses_dynamic_stack 0
		.amdhsa_system_sgpr_private_segment_wavefront_offset 1
		.amdhsa_system_sgpr_workgroup_id_x 1
		.amdhsa_system_sgpr_workgroup_id_y 0
		.amdhsa_system_sgpr_workgroup_id_z 1
		.amdhsa_system_sgpr_workgroup_info 0
		.amdhsa_system_vgpr_workitem_id 0
		.amdhsa_next_free_vgpr 256
		.amdhsa_next_free_sgpr 92
		.amdhsa_accum_offset 256
		.amdhsa_reserve_vcc 1
		.amdhsa_reserve_flat_scratch 0
		.amdhsa_float_round_mode_32 0
		.amdhsa_float_round_mode_16_64 0
		.amdhsa_float_denorm_mode_32 3
		.amdhsa_float_denorm_mode_16_64 3
		.amdhsa_dx10_clamp 1
		.amdhsa_ieee_mode 1
		.amdhsa_fp16_overflow 0
		.amdhsa_tg_split 0
		.amdhsa_exception_fp_ieee_invalid_op 0
		.amdhsa_exception_fp_denorm_src 0
		.amdhsa_exception_fp_ieee_div_zero 0
		.amdhsa_exception_fp_ieee_overflow 0
		.amdhsa_exception_fp_ieee_underflow 0
		.amdhsa_exception_fp_ieee_inexact 0
		.amdhsa_exception_int_div_zero 0
	.end_amdhsa_kernel
	.section	.text._ZN2ck27kernel_gemm_xdl_cshuffle_v3INS_28GridwiseGemm_xdl_cshuffle_v3INS_13tensor_layout4gemm8RowMajorENS3_11ColumnMajorES4_DF16_DF16_fDF16_DF16_NS_16tensor_operation12element_wise11PassThroughES8_S8_LNS6_6device18GemmSpecializationE4ELi64ELi32ELi32ELi256ELi8ELi8ELi16ELi16ELi2ELi2ENS_8SequenceIJLi32ELi2ELi1EEEENSB_IJLi1ELi0ELi2EEEESD_Li2ELi8ELi8ELb0ELi0ESC_SD_SD_Li2ELi8ELi8ELb0ELi0ELi1ELi1ENSB_IJLi1ELi16ELi1ELi4EEEELi4ELNS_26BlockGemmPipelineSchedulerE1ELNS_24BlockGemmPipelineVersionE1EDF16_DF16_Lb0ELb0ELb0ELi0ELb0EEELb1ELNS_25InMemoryDataOperationEnumE0ELi2ELNS_10TailNumberE2EEEvNT_8ArgumentE,"axG",@progbits,_ZN2ck27kernel_gemm_xdl_cshuffle_v3INS_28GridwiseGemm_xdl_cshuffle_v3INS_13tensor_layout4gemm8RowMajorENS3_11ColumnMajorES4_DF16_DF16_fDF16_DF16_NS_16tensor_operation12element_wise11PassThroughES8_S8_LNS6_6device18GemmSpecializationE4ELi64ELi32ELi32ELi256ELi8ELi8ELi16ELi16ELi2ELi2ENS_8SequenceIJLi32ELi2ELi1EEEENSB_IJLi1ELi0ELi2EEEESD_Li2ELi8ELi8ELb0ELi0ESC_SD_SD_Li2ELi8ELi8ELb0ELi0ELi1ELi1ENSB_IJLi1ELi16ELi1ELi4EEEELi4ELNS_26BlockGemmPipelineSchedulerE1ELNS_24BlockGemmPipelineVersionE1EDF16_DF16_Lb0ELb0ELb0ELi0ELb0EEELb1ELNS_25InMemoryDataOperationEnumE0ELi2ELNS_10TailNumberE2EEEvNT_8ArgumentE,comdat
.Lfunc_end3:
	.size	_ZN2ck27kernel_gemm_xdl_cshuffle_v3INS_28GridwiseGemm_xdl_cshuffle_v3INS_13tensor_layout4gemm8RowMajorENS3_11ColumnMajorES4_DF16_DF16_fDF16_DF16_NS_16tensor_operation12element_wise11PassThroughES8_S8_LNS6_6device18GemmSpecializationE4ELi64ELi32ELi32ELi256ELi8ELi8ELi16ELi16ELi2ELi2ENS_8SequenceIJLi32ELi2ELi1EEEENSB_IJLi1ELi0ELi2EEEESD_Li2ELi8ELi8ELb0ELi0ESC_SD_SD_Li2ELi8ELi8ELb0ELi0ELi1ELi1ENSB_IJLi1ELi16ELi1ELi4EEEELi4ELNS_26BlockGemmPipelineSchedulerE1ELNS_24BlockGemmPipelineVersionE1EDF16_DF16_Lb0ELb0ELb0ELi0ELb0EEELb1ELNS_25InMemoryDataOperationEnumE0ELi2ELNS_10TailNumberE2EEEvNT_8ArgumentE, .Lfunc_end3-_ZN2ck27kernel_gemm_xdl_cshuffle_v3INS_28GridwiseGemm_xdl_cshuffle_v3INS_13tensor_layout4gemm8RowMajorENS3_11ColumnMajorES4_DF16_DF16_fDF16_DF16_NS_16tensor_operation12element_wise11PassThroughES8_S8_LNS6_6device18GemmSpecializationE4ELi64ELi32ELi32ELi256ELi8ELi8ELi16ELi16ELi2ELi2ENS_8SequenceIJLi32ELi2ELi1EEEENSB_IJLi1ELi0ELi2EEEESD_Li2ELi8ELi8ELb0ELi0ESC_SD_SD_Li2ELi8ELi8ELb0ELi0ELi1ELi1ENSB_IJLi1ELi16ELi1ELi4EEEELi4ELNS_26BlockGemmPipelineSchedulerE1ELNS_24BlockGemmPipelineVersionE1EDF16_DF16_Lb0ELb0ELb0ELi0ELb0EEELb1ELNS_25InMemoryDataOperationEnumE0ELi2ELNS_10TailNumberE2EEEvNT_8ArgumentE
                                        ; -- End function
	.section	.AMDGPU.csdata,"",@progbits
; Kernel info:
; codeLenInByte = 17588
; NumSgprs: 96
; NumVgprs: 256
; NumAgprs: 0
; TotalNumVgprs: 256
; ScratchSize: 708
; MemoryBound: 0
; FloatMode: 240
; IeeeMode: 1
; LDSByteSize: 32768 bytes/workgroup (compile time only)
; SGPRBlocks: 11
; VGPRBlocks: 31
; NumSGPRsForWavesPerEU: 96
; NumVGPRsForWavesPerEU: 256
; AccumOffset: 256
; Occupancy: 1
; WaveLimiterHint : 0
; COMPUTE_PGM_RSRC2:SCRATCH_EN: 1
; COMPUTE_PGM_RSRC2:USER_SGPR: 6
; COMPUTE_PGM_RSRC2:TRAP_HANDLER: 0
; COMPUTE_PGM_RSRC2:TGID_X_EN: 1
; COMPUTE_PGM_RSRC2:TGID_Y_EN: 0
; COMPUTE_PGM_RSRC2:TGID_Z_EN: 1
; COMPUTE_PGM_RSRC2:TIDIG_COMP_CNT: 0
; COMPUTE_PGM_RSRC3_GFX90A:ACCUM_OFFSET: 63
; COMPUTE_PGM_RSRC3_GFX90A:TG_SPLIT: 0
	.section	.text._ZN2ck27kernel_gemm_xdl_cshuffle_v3INS_28GridwiseGemm_xdl_cshuffle_v3INS_13tensor_layout4gemm8RowMajorENS3_11ColumnMajorES4_DF16_DF16_fDF16_DF16_NS_16tensor_operation12element_wise11PassThroughES8_S8_LNS6_6device18GemmSpecializationE4ELi64ELi32ELi32ELi256ELi8ELi8ELi16ELi16ELi2ELi2ENS_8SequenceIJLi32ELi2ELi1EEEENSB_IJLi1ELi0ELi2EEEESD_Li2ELi8ELi8ELb0ELi0ESC_SD_SD_Li2ELi8ELi8ELb0ELi0ELi1ELi1ENSB_IJLi1ELi16ELi1ELi4EEEELi4ELNS_26BlockGemmPipelineSchedulerE1ELNS_24BlockGemmPipelineVersionE1EDF16_DF16_Lb0ELb0ELb0ELi0ELb0EEELb1ELNS_25InMemoryDataOperationEnumE0ELi2ELNS_10TailNumberE10EEEvNT_8ArgumentE,"axG",@progbits,_ZN2ck27kernel_gemm_xdl_cshuffle_v3INS_28GridwiseGemm_xdl_cshuffle_v3INS_13tensor_layout4gemm8RowMajorENS3_11ColumnMajorES4_DF16_DF16_fDF16_DF16_NS_16tensor_operation12element_wise11PassThroughES8_S8_LNS6_6device18GemmSpecializationE4ELi64ELi32ELi32ELi256ELi8ELi8ELi16ELi16ELi2ELi2ENS_8SequenceIJLi32ELi2ELi1EEEENSB_IJLi1ELi0ELi2EEEESD_Li2ELi8ELi8ELb0ELi0ESC_SD_SD_Li2ELi8ELi8ELb0ELi0ELi1ELi1ENSB_IJLi1ELi16ELi1ELi4EEEELi4ELNS_26BlockGemmPipelineSchedulerE1ELNS_24BlockGemmPipelineVersionE1EDF16_DF16_Lb0ELb0ELb0ELi0ELb0EEELb1ELNS_25InMemoryDataOperationEnumE0ELi2ELNS_10TailNumberE10EEEvNT_8ArgumentE,comdat
	.protected	_ZN2ck27kernel_gemm_xdl_cshuffle_v3INS_28GridwiseGemm_xdl_cshuffle_v3INS_13tensor_layout4gemm8RowMajorENS3_11ColumnMajorES4_DF16_DF16_fDF16_DF16_NS_16tensor_operation12element_wise11PassThroughES8_S8_LNS6_6device18GemmSpecializationE4ELi64ELi32ELi32ELi256ELi8ELi8ELi16ELi16ELi2ELi2ENS_8SequenceIJLi32ELi2ELi1EEEENSB_IJLi1ELi0ELi2EEEESD_Li2ELi8ELi8ELb0ELi0ESC_SD_SD_Li2ELi8ELi8ELb0ELi0ELi1ELi1ENSB_IJLi1ELi16ELi1ELi4EEEELi4ELNS_26BlockGemmPipelineSchedulerE1ELNS_24BlockGemmPipelineVersionE1EDF16_DF16_Lb0ELb0ELb0ELi0ELb0EEELb1ELNS_25InMemoryDataOperationEnumE0ELi2ELNS_10TailNumberE10EEEvNT_8ArgumentE ; -- Begin function _ZN2ck27kernel_gemm_xdl_cshuffle_v3INS_28GridwiseGemm_xdl_cshuffle_v3INS_13tensor_layout4gemm8RowMajorENS3_11ColumnMajorES4_DF16_DF16_fDF16_DF16_NS_16tensor_operation12element_wise11PassThroughES8_S8_LNS6_6device18GemmSpecializationE4ELi64ELi32ELi32ELi256ELi8ELi8ELi16ELi16ELi2ELi2ENS_8SequenceIJLi32ELi2ELi1EEEENSB_IJLi1ELi0ELi2EEEESD_Li2ELi8ELi8ELb0ELi0ESC_SD_SD_Li2ELi8ELi8ELb0ELi0ELi1ELi1ENSB_IJLi1ELi16ELi1ELi4EEEELi4ELNS_26BlockGemmPipelineSchedulerE1ELNS_24BlockGemmPipelineVersionE1EDF16_DF16_Lb0ELb0ELb0ELi0ELb0EEELb1ELNS_25InMemoryDataOperationEnumE0ELi2ELNS_10TailNumberE10EEEvNT_8ArgumentE
	.globl	_ZN2ck27kernel_gemm_xdl_cshuffle_v3INS_28GridwiseGemm_xdl_cshuffle_v3INS_13tensor_layout4gemm8RowMajorENS3_11ColumnMajorES4_DF16_DF16_fDF16_DF16_NS_16tensor_operation12element_wise11PassThroughES8_S8_LNS6_6device18GemmSpecializationE4ELi64ELi32ELi32ELi256ELi8ELi8ELi16ELi16ELi2ELi2ENS_8SequenceIJLi32ELi2ELi1EEEENSB_IJLi1ELi0ELi2EEEESD_Li2ELi8ELi8ELb0ELi0ESC_SD_SD_Li2ELi8ELi8ELb0ELi0ELi1ELi1ENSB_IJLi1ELi16ELi1ELi4EEEELi4ELNS_26BlockGemmPipelineSchedulerE1ELNS_24BlockGemmPipelineVersionE1EDF16_DF16_Lb0ELb0ELb0ELi0ELb0EEELb1ELNS_25InMemoryDataOperationEnumE0ELi2ELNS_10TailNumberE10EEEvNT_8ArgumentE
	.p2align	8
	.type	_ZN2ck27kernel_gemm_xdl_cshuffle_v3INS_28GridwiseGemm_xdl_cshuffle_v3INS_13tensor_layout4gemm8RowMajorENS3_11ColumnMajorES4_DF16_DF16_fDF16_DF16_NS_16tensor_operation12element_wise11PassThroughES8_S8_LNS6_6device18GemmSpecializationE4ELi64ELi32ELi32ELi256ELi8ELi8ELi16ELi16ELi2ELi2ENS_8SequenceIJLi32ELi2ELi1EEEENSB_IJLi1ELi0ELi2EEEESD_Li2ELi8ELi8ELb0ELi0ESC_SD_SD_Li2ELi8ELi8ELb0ELi0ELi1ELi1ENSB_IJLi1ELi16ELi1ELi4EEEELi4ELNS_26BlockGemmPipelineSchedulerE1ELNS_24BlockGemmPipelineVersionE1EDF16_DF16_Lb0ELb0ELb0ELi0ELb0EEELb1ELNS_25InMemoryDataOperationEnumE0ELi2ELNS_10TailNumberE10EEEvNT_8ArgumentE,@function
_ZN2ck27kernel_gemm_xdl_cshuffle_v3INS_28GridwiseGemm_xdl_cshuffle_v3INS_13tensor_layout4gemm8RowMajorENS3_11ColumnMajorES4_DF16_DF16_fDF16_DF16_NS_16tensor_operation12element_wise11PassThroughES8_S8_LNS6_6device18GemmSpecializationE4ELi64ELi32ELi32ELi256ELi8ELi8ELi16ELi16ELi2ELi2ENS_8SequenceIJLi32ELi2ELi1EEEENSB_IJLi1ELi0ELi2EEEESD_Li2ELi8ELi8ELb0ELi0ESC_SD_SD_Li2ELi8ELi8ELb0ELi0ELi1ELi1ENSB_IJLi1ELi16ELi1ELi4EEEELi4ELNS_26BlockGemmPipelineSchedulerE1ELNS_24BlockGemmPipelineVersionE1EDF16_DF16_Lb0ELb0ELb0ELi0ELb0EEELb1ELNS_25InMemoryDataOperationEnumE0ELi2ELNS_10TailNumberE10EEEvNT_8ArgumentE: ; @_ZN2ck27kernel_gemm_xdl_cshuffle_v3INS_28GridwiseGemm_xdl_cshuffle_v3INS_13tensor_layout4gemm8RowMajorENS3_11ColumnMajorES4_DF16_DF16_fDF16_DF16_NS_16tensor_operation12element_wise11PassThroughES8_S8_LNS6_6device18GemmSpecializationE4ELi64ELi32ELi32ELi256ELi8ELi8ELi16ELi16ELi2ELi2ENS_8SequenceIJLi32ELi2ELi1EEEENSB_IJLi1ELi0ELi2EEEESD_Li2ELi8ELi8ELb0ELi0ESC_SD_SD_Li2ELi8ELi8ELb0ELi0ELi1ELi1ENSB_IJLi1ELi16ELi1ELi4EEEELi4ELNS_26BlockGemmPipelineSchedulerE1ELNS_24BlockGemmPipelineVersionE1EDF16_DF16_Lb0ELb0ELb0ELi0ELb0EEELb1ELNS_25InMemoryDataOperationEnumE0ELi2ELNS_10TailNumberE10EEEvNT_8ArgumentE
; %bb.0:
	s_mov_b64 s[90:91], s[2:3]
	s_mov_b64 s[88:89], s[0:1]
	s_add_u32 s88, s88, s8
	s_load_dwordx8 s[64:71], s[4:5], 0x10
	s_load_dword s10, s[4:5], 0x68
	s_load_dwordx2 s[80:81], s[4:5], 0x60
	s_load_dwordx4 s[0:3], s[4:5], 0x50
	s_addc_u32 s89, s89, 0
	s_waitcnt lgkmcnt(0)
	s_cmp_gt_i32 s70, 1
	s_cselect_b64 s[8:9], -1, 0
	s_bitcmp1_b32 s10, 0
	s_cselect_b64 s[10:11], -1, 0
	s_and_b64 s[8:9], s[8:9], s[10:11]
	s_andn2_b64 vcc, exec, s[8:9]
	s_mov_b64 s[82:83], 0
	s_cbranch_vccnz .LBB4_2
; %bb.1:
	s_mul_i32 s8, s64, s7
	s_mul_i32 s82, s8, s65
	s_ashr_i32 s83, s82, 31
.LBB4_2:
	s_load_dword s9, s[4:5], 0x34
	s_load_dword s8, s[4:5], 0x3c
	s_add_i32 s4, s64, -1
	s_cmp_lt_u32 s4, 32
	s_mov_b32 s71, 0
	s_cbranch_scc1 .LBB4_6
; %bb.3:
	s_add_i32 s4, s65, -1
	s_cmp_lt_u32 s4, 32
	s_mov_b32 s4, 0
	s_cbranch_scc1 .LBB4_10
; %bb.4:
	s_add_i32 s4, s64, 31
	s_ashr_i32 s5, s4, 31
	s_lshr_b32 s5, s5, 27
	s_add_i32 s4, s4, s5
	s_ashr_i32 s11, s4, 5
	s_add_i32 s4, s65, 31
	s_ashr_i32 s5, s4, 31
	s_lshr_b32 s5, s5, 27
	s_add_i32 s4, s4, s5
	s_ashr_i32 s10, s4, 5
	s_mul_i32 s4, s10, s11
	s_add_i32 s5, s4, 7
	s_ashr_i32 s12, s5, 31
	s_lshr_b32 s12, s12, 29
	s_add_i32 s5, s5, s12
	s_ashr_i32 s12, s5, 3
	s_and_b32 s5, s5, -8
	s_sub_i32 s13, s4, s5
	s_ashr_i32 s4, s6, 31
	s_lshr_b32 s4, s4, 29
	s_add_i32 s15, s6, s4
	s_and_b32 s4, s15, -8
	s_add_i32 s13, s13, 8
	s_sub_i32 s14, s6, s4
	s_cmp_gt_i32 s14, s13
	s_cbranch_scc1 .LBB4_7
; %bb.5:
	s_mul_i32 s6, s12, s14
	s_ashr_i32 s4, s15, 3
	s_cbranch_execz .LBB4_8
	s_branch .LBB4_9
.LBB4_6:
	s_mov_b32 s33, 0
	s_branch .LBB4_11
.LBB4_7:
                                        ; implicit-def: $sgpr6
	s_ashr_i32 s4, s15, 3
.LBB4_8:
	s_add_i32 s5, s12, -1
	s_mul_i32 s5, s5, s14
	s_add_i32 s6, s13, s5
.LBB4_9:
	s_abs_i32 s5, s10
	v_cvt_f32_u32_e32 v1, s5
	s_sub_i32 s13, 0, s5
	s_add_i32 s4, s6, s4
	s_abs_i32 s12, s4
	v_rcp_iflag_f32_e32 v1, v1
	s_xor_b32 s6, s4, s10
	s_ashr_i32 s6, s6, 31
	v_mul_f32_e32 v1, 0x4f7ffffe, v1
	v_cvt_u32_f32_e32 v1, v1
	v_readfirstlane_b32 s14, v1
	s_mul_i32 s13, s13, s14
	s_mul_hi_u32 s13, s14, s13
	s_add_i32 s14, s14, s13
	s_mul_hi_u32 s13, s12, s14
	s_mul_i32 s14, s13, s5
	s_sub_i32 s12, s12, s14
	s_add_i32 s15, s13, 1
	s_sub_i32 s14, s12, s5
	s_cmp_ge_u32 s12, s5
	s_cselect_b32 s13, s15, s13
	s_cselect_b32 s12, s14, s12
	s_add_i32 s14, s13, 1
	s_cmp_ge_u32 s12, s5
	s_cselect_b32 s5, s14, s13
	s_xor_b32 s5, s5, s6
	s_lshr_b32 s12, s11, 30
	s_sub_i32 s5, s5, s6
	s_add_i32 s12, s11, s12
	s_mul_i32 s6, s5, s10
	s_sub_i32 s4, s4, s6
	s_and_b32 s6, s12, -4
	s_sub_i32 s11, s11, s6
	s_cmp_ge_i32 s5, s6
	s_cselect_b32 s6, s11, 4
	s_abs_i32 s12, s6
	v_cvt_f32_u32_e32 v1, s12
	s_ashr_i32 s11, s5, 31
	s_lshr_b32 s11, s11, 30
	s_add_i32 s11, s5, s11
	v_rcp_iflag_f32_e32 v1, v1
	s_and_b32 s11, s11, -4
	s_sub_i32 s11, s5, s11
	s_sub_i32 s14, 0, s12
	v_mul_f32_e32 v1, 0x4f7ffffe, v1
	v_cvt_u32_f32_e32 v1, v1
	s_mul_i32 s10, s11, s10
	s_add_i32 s10, s10, s4
	s_abs_i32 s13, s10
	v_readfirstlane_b32 s15, v1
	s_mul_i32 s14, s14, s15
	s_mul_hi_u32 s14, s15, s14
	s_add_i32 s15, s15, s14
	s_mul_hi_u32 s14, s13, s15
	s_mul_i32 s15, s14, s12
	s_xor_b32 s4, s10, s6
	s_sub_i32 s13, s13, s15
	s_ashr_i32 s4, s4, 31
	s_add_i32 s15, s14, 1
	s_sub_i32 s16, s13, s12
	s_cmp_ge_u32 s13, s12
	s_cselect_b32 s14, s15, s14
	s_cselect_b32 s13, s16, s13
	s_add_i32 s15, s14, 1
	s_cmp_ge_u32 s13, s12
	s_cselect_b32 s12, s15, s14
	s_xor_b32 s12, s12, s4
	s_sub_i32 s4, s12, s4
	s_mul_i32 s6, s4, s6
	s_sub_i32 s6, s10, s6
	s_add_i32 s6, s6, s5
	s_sub_i32 s6, s6, s11
.LBB4_10:
	s_mov_b32 s33, s6
	s_mov_b32 s6, s4
.LBB4_11:
	s_waitcnt lgkmcnt(0)
	s_mul_i32 s4, s9, s7
	s_ashr_i32 s5, s4, 31
	s_lshl_b64 s[4:5], s[4:5], 1
	s_add_u32 s72, s0, s4
	s_addc_u32 s73, s1, s5
	s_add_u32 s76, s2, s4
	s_addc_u32 s77, s3, s5
	s_add_u32 s84, 0, 0
	s_addc_u32 s85, s64, -1
	s_add_u32 s1, 0, 0
	s_addc_u32 s1, s65, 0x7fffffff
	s_add_i32 s2, s70, -1
	s_mul_i32 s3, s2, s9
	s_sub_i32 s3, s66, s3
	s_cmp_lt_u32 s7, s2
	v_lshrrev_b32_e32 v149, 1, v0
	s_cselect_b32 s2, s9, s3
	s_lshl_b32 s3, s33, 5
	v_and_b32_e32 v172, 31, v0
	v_and_b32_e32 v1, 16, v149
	v_add_u32_e32 v167, s3, v1
	v_xor_b32_e32 v137, v1, v172
	v_lshlrev_b32_e32 v4, 8, v1
	s_mul_i32 s0, s85, s67
	v_lshlrev_b32_e32 v2, 3, v172
	v_mul_lo_u32 v130, v167, s67
	v_lshl_or_b32 v168, v137, 3, v4
	v_lshlrev_b32_e32 v4, 2, v0
	v_add_u32_e32 v3, v130, v2
	buffer_store_dword v4, off, s[88:91], 0 offset:772 ; 4-byte Folded Spill
	v_and_b32_e32 v4, 0xc0, v4
	s_add_i32 s0, s2, s0
	buffer_store_dword v4, off, s[88:91], 0 offset:776 ; 4-byte Folded Spill
	v_lshrrev_b32_e32 v144, 3, v4
	s_lshl_b32 s74, s0, 1
	s_mov_b32 s75, 0x20000
	v_lshlrev_b32_e32 v4, 1, v3
	v_add_u32_e32 v3, s67, v3
	v_lshlrev_b32_e32 v5, 1, v3
	buffer_load_dwordx4 v[66:69], v4, s[72:75], 0 offen
	buffer_load_dwordx4 v[70:73], v5, s[72:75], 0 offen
	v_add_u32_e32 v3, s67, v3
	v_lshlrev_b32_e32 v4, 1, v3
	v_add_u32_e32 v3, s67, v3
	v_lshlrev_b32_e32 v5, 1, v3
	buffer_load_dwordx4 v[74:77], v4, s[72:75], 0 offen
	buffer_load_dwordx4 v[78:81], v5, s[72:75], 0 offen
	v_add_u32_e32 v3, s67, v3
	;; [unrolled: 6-line block ×6, first 2 shown]
	v_lshlrev_b32_e32 v4, 1, v3
	v_add_u32_e32 v3, s67, v3
	s_lshl_b32 s66, s6, 5
	v_lshlrev_b32_e32 v5, 1, v3
	buffer_load_dwordx4 v[114:117], v4, s[72:75], 0 offen
	buffer_load_dwordx4 v[118:121], v5, s[72:75], 0 offen
	v_add_u32_e32 v169, s66, v1
	v_add_u32_e32 v3, s67, v3
	v_mul_lo_u32 v132, v169, s68
	v_add_u32_e32 v170, s67, v3
	s_mul_i32 s1, s1, s68
	v_add_u32_e32 v2, v132, v2
	v_lshlrev_b32_e32 v4, 1, v3
	v_lshlrev_b32_e32 v3, 1, v170
	buffer_load_dwordx4 v[122:125], v4, s[72:75], 0 offen
	buffer_load_dwordx4 v[126:129], v3, s[72:75], 0 offen
	s_add_i32 s2, s2, s1
	v_lshlrev_b32_e32 v3, 1, v2
	v_add_u32_e32 v2, s68, v2
	s_lshl_b32 s78, s2, 1
	s_mov_b32 s79, s75
	v_lshlrev_b32_e32 v4, 1, v2
	v_add_u32_e32 v2, s68, v2
	buffer_load_dwordx4 v[62:65], v3, s[76:79], 0 offen
	buffer_load_dwordx4 v[54:57], v4, s[76:79], 0 offen
	v_lshlrev_b32_e32 v3, 1, v2
	v_add_u32_e32 v2, s68, v2
	v_lshlrev_b32_e32 v4, 1, v2
	v_add_u32_e32 v2, s68, v2
	buffer_load_dwordx4 v[58:61], v3, s[76:79], 0 offen
	buffer_load_dwordx4 v[46:49], v4, s[76:79], 0 offen
	v_lshlrev_b32_e32 v3, 1, v2
	v_add_u32_e32 v2, s68, v2
	v_lshlrev_b32_e32 v4, 1, v2
	v_add_u32_e32 v2, s68, v2
	buffer_load_dwordx4 v[50:53], v3, s[76:79], 0 offen
	buffer_load_dwordx4 v[38:41], v4, s[76:79], 0 offen
	v_lshlrev_b32_e32 v3, 1, v2
	v_add_u32_e32 v2, s68, v2
	v_lshlrev_b32_e32 v4, 1, v2
	v_add_u32_e32 v2, s68, v2
	buffer_load_dwordx4 v[42:45], v3, s[76:79], 0 offen
	buffer_load_dwordx4 v[30:33], v4, s[76:79], 0 offen
	v_lshlrev_b32_e32 v3, 1, v2
	v_add_u32_e32 v2, s68, v2
	v_lshlrev_b32_e32 v4, 1, v2
	v_add_u32_e32 v2, s68, v2
	buffer_load_dwordx4 v[34:37], v3, s[76:79], 0 offen
	buffer_load_dwordx4 v[22:25], v4, s[76:79], 0 offen
	v_lshlrev_b32_e32 v3, 1, v2
	v_add_u32_e32 v2, s68, v2
	v_lshlrev_b32_e32 v4, 1, v2
	v_add_u32_e32 v2, s68, v2
	buffer_load_dwordx4 v[26:29], v3, s[76:79], 0 offen
	buffer_load_dwordx4 v[14:17], v4, s[76:79], 0 offen
	v_lshlrev_b32_e32 v3, 1, v2
	v_add_u32_e32 v2, s68, v2
	v_lshlrev_b32_e32 v4, 1, v2
	v_add_u32_e32 v2, s68, v2
	v_add_u32_e32 v171, s68, v2
	v_cmp_gt_i32_e64 s[4:5], s64, v167
	v_add_u32_e32 v131, 1, v167
	v_add_u32_e32 v133, 2, v167
	;; [unrolled: 1-line block ×15, first 2 shown]
	buffer_load_dwordx4 v[18:21], v3, s[76:79], 0 offen
	buffer_load_dwordx4 v[6:9], v4, s[76:79], 0 offen
	v_lshlrev_b32_e32 v3, 1, v2
	v_lshlrev_b32_e32 v2, 1, v171
	s_waitcnt vmcnt(29)
	v_cndmask_b32_e64 v69, 0, v69, s[4:5]
	v_cndmask_b32_e64 v68, 0, v68, s[4:5]
	;; [unrolled: 1-line block ×4, first 2 shown]
	v_lshlrev_b32_e32 v167, 1, v168
	buffer_load_dwordx4 v[10:13], v3, s[76:79], 0 offen
	s_nop 0
	buffer_load_dwordx4 v[2:5], v2, s[76:79], 0 offen
	ds_write_b128 v167, v[66:69]
	v_or_b32_e32 v66, 1, v1
	v_xor_b32_e32 v66, v66, v172
	v_sub_u32_e32 v67, v66, v137
	v_or_b32_e32 v69, 2, v1
	v_cmp_gt_i32_e32 vcc, s64, v131
	v_lshlrev_b32_e32 v173, 3, v67
	v_lshlrev_b32_e32 v67, 4, v67
	v_xor_b32_e32 v69, v69, v172
	s_waitcnt vmcnt(30)
	v_cndmask_b32_e32 v73, 0, v73, vcc
	v_cndmask_b32_e32 v72, 0, v72, vcc
	;; [unrolled: 1-line block ×4, first 2 shown]
	v_add_u32_e32 v68, v167, v67
	v_sub_u32_e32 v66, v69, v66
	ds_write_b128 v68, v[70:73] offset:512
	v_lshlrev_b32_e32 v70, 3, v66
	buffer_store_dword v70, off, s[88:91], 0 offset:704 ; 4-byte Folded Spill
	v_add_u32_e32 v70, 0x100, v70
	v_add_u32_e32 v71, 0x100, v173
	buffer_store_dword v173, off, s[88:91], 0 offset:700 ; 4-byte Folded Spill
	buffer_store_dword v70, off, s[88:91], 0 offset:648 ; 4-byte Folded Spill
	;; [unrolled: 1-line block ×3, first 2 shown]
	v_add3_u32 v70, v71, v168, v70
	v_or_b32_e32 v71, 3, v1
	s_mul_i32 s0, s67, -15
	v_xor_b32_e32 v71, v71, v172
	s_addk_i32 s0, 0x100
	v_sub_u32_e32 v69, v71, v69
	v_add_u32_e32 v170, s0, v170
	s_mul_i32 s0, s68, -15
	v_lshlrev_b32_e32 v72, 3, v69
	s_addk_i32 s0, 0x100
	buffer_store_dword v72, off, s[88:91], 0 offset:708 ; 4-byte Folded Spill
	v_add_u32_e32 v73, 0x100, v72
	v_or_b32_e32 v72, 4, v1
	s_ashr_i32 s3, s8, 31
	v_add_u32_e32 v171, s0, v171
	v_cmp_gt_i32_e64 s[0:1], s64, v133
	v_lshlrev_b32_e32 v66, 4, v66
	s_movk_i32 s70, 0x200
	v_xor_b32_e32 v72, v72, v172
	s_lshr_b32 s3, s3, 27
	s_waitcnt vmcnt(34)
	v_cndmask_b32_e64 v77, 0, v77, s[0:1]
	v_cndmask_b32_e64 v76, 0, v76, s[0:1]
	;; [unrolled: 1-line block ×4, first 2 shown]
	v_add3_u32 v68, v68, s70, v66
	v_sub_u32_e32 v71, v72, v71
	s_add_i32 s8, s8, s3
	v_cmp_gt_i32_e64 s[2:3], s64, v134
	ds_write_b128 v68, v[74:77] offset:512
	v_lshlrev_b32_e32 v69, 4, v69
	v_lshlrev_b32_e32 v74, 3, v71
	s_waitcnt vmcnt(33)
	v_cndmask_b32_e64 v81, 0, v81, s[2:3]
	v_cndmask_b32_e64 v80, 0, v80, s[2:3]
	;; [unrolled: 1-line block ×4, first 2 shown]
	v_add3_u32 v68, v68, s70, v69
	buffer_store_dword v74, off, s[88:91], 0 offset:712 ; 4-byte Folded Spill
	v_add_u32_e32 v74, 0x100, v74
	ds_write_b128 v68, v[78:81] offset:512
	buffer_store_dword v73, off, s[88:91], 0 offset:656 ; 4-byte Folded Spill
	buffer_store_dword v74, off, s[88:91], 0 offset:660 ; 4-byte Folded Spill
	v_add3_u32 v70, v70, v73, v74
	v_or_b32_e32 v73, 5, v1
	v_xor_b32_e32 v73, v73, v172
	v_sub_u32_e32 v72, v73, v72
	v_lshlrev_b32_e32 v74, 3, v72
	buffer_store_dword v74, off, s[88:91], 0 offset:716 ; 4-byte Folded Spill
	v_add_u32_e32 v75, 0x100, v74
	v_or_b32_e32 v74, 6, v1
	v_xor_b32_e32 v74, v74, v172
	v_cmp_gt_i32_e64 s[6:7], s64, v135
	v_lshlrev_b32_e32 v71, 4, v71
	v_sub_u32_e32 v73, v74, v73
	s_ashr_i32 s87, s8, 5
	s_waitcnt vmcnt(36)
	v_cndmask_b32_e64 v85, 0, v85, s[6:7]
	v_cndmask_b32_e64 v84, 0, v84, s[6:7]
	v_cndmask_b32_e64 v83, 0, v83, s[6:7]
	v_cndmask_b32_e64 v82, 0, v82, s[6:7]
	v_cmp_gt_i32_e64 s[8:9], s64, v136
	v_add3_u32 v68, v68, s70, v71
	v_lshlrev_b32_e32 v72, 4, v72
	v_lshlrev_b32_e32 v76, 3, v73
	s_waitcnt vmcnt(35)
	v_cndmask_b32_e64 v89, 0, v89, s[8:9]
	v_cndmask_b32_e64 v88, 0, v88, s[8:9]
	v_cndmask_b32_e64 v87, 0, v87, s[8:9]
	v_cndmask_b32_e64 v86, 0, v86, s[8:9]
	ds_write_b128 v68, v[82:85] offset:512
	v_add3_u32 v68, v68, s70, v72
	buffer_store_dword v76, off, s[88:91], 0 offset:720 ; 4-byte Folded Spill
	v_add_u32_e32 v76, 0x100, v76
	ds_write_b128 v68, v[86:89] offset:512
	buffer_store_dword v75, off, s[88:91], 0 offset:664 ; 4-byte Folded Spill
	buffer_store_dword v76, off, s[88:91], 0 offset:668 ; 4-byte Folded Spill
	v_add3_u32 v70, v70, v75, v76
	v_or_b32_e32 v75, 7, v1
	v_xor_b32_e32 v75, v75, v172
	v_sub_u32_e32 v74, v75, v74
	v_lshlrev_b32_e32 v76, 3, v74
	buffer_store_dword v76, off, s[88:91], 0 offset:724 ; 4-byte Folded Spill
	v_add_u32_e32 v77, 0x100, v76
	v_or_b32_e32 v76, 8, v1
	v_xor_b32_e32 v76, v76, v172
	v_cmp_gt_i32_e64 s[10:11], s64, v138
	v_lshlrev_b32_e32 v73, 4, v73
	v_sub_u32_e32 v75, v76, v75
	s_waitcnt vmcnt(38)
	v_cndmask_b32_e64 v93, 0, v93, s[10:11]
	v_cndmask_b32_e64 v92, 0, v92, s[10:11]
	v_cndmask_b32_e64 v91, 0, v91, s[10:11]
	v_cndmask_b32_e64 v90, 0, v90, s[10:11]
	v_cmp_gt_i32_e64 s[12:13], s64, v139
	v_add3_u32 v68, v68, s70, v73
	v_lshlrev_b32_e32 v74, 4, v74
	v_lshlrev_b32_e32 v78, 3, v75
	s_waitcnt vmcnt(37)
	v_cndmask_b32_e64 v97, 0, v97, s[12:13]
	v_cndmask_b32_e64 v96, 0, v96, s[12:13]
	v_cndmask_b32_e64 v95, 0, v95, s[12:13]
	v_cndmask_b32_e64 v94, 0, v94, s[12:13]
	ds_write_b128 v68, v[90:93] offset:512
	v_add3_u32 v68, v68, s70, v74
	buffer_store_dword v78, off, s[88:91], 0 offset:728 ; 4-byte Folded Spill
	v_add_u32_e32 v78, 0x100, v78
	ds_write_b128 v68, v[94:97] offset:512
	buffer_store_dword v77, off, s[88:91], 0 offset:672 ; 4-byte Folded Spill
	buffer_store_dword v78, off, s[88:91], 0 offset:676 ; 4-byte Folded Spill
	v_add3_u32 v70, v70, v77, v78
	v_or_b32_e32 v77, 9, v1
	v_xor_b32_e32 v77, v77, v172
	v_sub_u32_e32 v76, v77, v76
	v_lshlrev_b32_e32 v78, 3, v76
	buffer_store_dword v78, off, s[88:91], 0 offset:732 ; 4-byte Folded Spill
	v_add_u32_e32 v79, 0x100, v78
	v_or_b32_e32 v78, 10, v1
	v_xor_b32_e32 v78, v78, v172
	v_cmp_gt_i32_e64 s[14:15], s64, v141
	v_lshlrev_b32_e32 v75, 4, v75
	v_sub_u32_e32 v77, v78, v77
	;; [unrolled: 33-line block ×4, first 2 shown]
	s_waitcnt vmcnt(44)
	v_cndmask_b32_e64 v117, 0, v117, s[22:23]
	v_cndmask_b32_e64 v116, 0, v116, s[22:23]
	;; [unrolled: 1-line block ×4, first 2 shown]
	v_cmp_gt_i32_e64 s[24:25], s64, v148
	v_add3_u32 v68, v68, s70, v79
	v_lshlrev_b32_e32 v80, 4, v80
	v_lshlrev_b32_e32 v82, 3, v81
	s_waitcnt vmcnt(43)
	v_cndmask_b32_e64 v121, 0, v121, s[24:25]
	v_cndmask_b32_e64 v120, 0, v120, s[24:25]
	;; [unrolled: 1-line block ×4, first 2 shown]
	ds_write_b128 v68, v[114:117] offset:512
	v_add3_u32 v68, v68, s70, v80
	buffer_store_dword v82, off, s[88:91], 0 offset:752 ; 4-byte Folded Spill
	v_add_u32_e32 v82, 0x100, v82
	ds_write_b128 v68, v[118:121] offset:512
	buffer_store_dword v83, off, s[88:91], 0 offset:684 ; 4-byte Folded Spill
	buffer_store_dword v82, off, s[88:91], 0 offset:688 ; 4-byte Folded Spill
	v_add3_u32 v70, v70, v83, v82
	v_or_b32_e32 v82, 15, v149
	v_xor_b32_e32 v82, v82, v0
	v_and_b32_e32 v82, 31, v82
	v_cmp_gt_i32_e64 s[26:27], s64, v150
	v_lshlrev_b32_e32 v81, 4, v81
	v_sub_u32_e32 v83, v82, v168
	s_waitcnt vmcnt(45)
	v_cndmask_b32_e64 v125, 0, v125, s[26:27]
	v_cndmask_b32_e64 v124, 0, v124, s[26:27]
	;; [unrolled: 1-line block ×4, first 2 shown]
	v_cmp_gt_i32_e64 s[28:29], s64, v151
	v_add3_u32 v68, v68, s70, v81
	v_lshl_add_u32 v70, v83, 3, v70
	v_lshlrev_b32_e32 v83, 4, v83
	s_waitcnt vmcnt(44)
	v_cndmask_b32_e64 v129, 0, v129, s[28:29]
	v_cndmask_b32_e64 v128, 0, v128, s[28:29]
	;; [unrolled: 1-line block ×4, first 2 shown]
	ds_write_b128 v68, v[122:125] offset:512
	v_add3_u32 v68, v68, s70, v83
	ds_write_b128 v68, v[126:129] offset:512
	v_sub_u32_e32 v68, v137, v82
	v_add_u32_e32 v152, 1, v169
	v_lshlrev_b32_e32 v68, 3, v68
	s_movk_i32 s30, 0xf200
	v_cmp_gt_i32_e64 s[38:39], s65, v169
	v_add_u32_e32 v153, 2, v169
	v_add3_u32 v149, v70, v68, s30
	s_waitcnt vmcnt(43)
	v_cndmask_b32_e64 v65, 0, v65, s[38:39]
	v_cndmask_b32_e64 v64, 0, v64, s[38:39]
	v_cndmask_b32_e64 v63, 0, v63, s[38:39]
	v_cndmask_b32_e64 v62, 0, v62, s[38:39]
	v_cmp_gt_i32_e64 s[30:31], s65, v152
	v_or_b32_e32 v68, 0x4000, v167
	v_add_u32_e32 v154, 3, v169
	s_waitcnt vmcnt(42)
	v_cndmask_b32_e64 v57, 0, v57, s[30:31]
	v_cndmask_b32_e64 v56, 0, v56, s[30:31]
	;; [unrolled: 1-line block ×4, first 2 shown]
	v_cmp_gt_i32_e64 s[34:35], s65, v153
	ds_write_b128 v167, v[62:65] offset:16384
	v_add_u32_e32 v62, v68, v67
	v_add_u32_e32 v155, 4, v169
	s_waitcnt vmcnt(41)
	v_cndmask_b32_e64 v61, 0, v61, s[34:35]
	v_cndmask_b32_e64 v60, 0, v60, s[34:35]
	v_cndmask_b32_e64 v59, 0, v59, s[34:35]
	v_cndmask_b32_e64 v58, 0, v58, s[34:35]
	v_cmp_gt_i32_e64 s[36:37], s65, v154
	ds_write_b128 v62, v[54:57] offset:512
	v_add3_u32 v54, v62, s70, v66
	v_add_u32_e32 v156, 5, v169
	s_waitcnt vmcnt(40)
	v_cndmask_b32_e64 v49, 0, v49, s[36:37]
	v_cndmask_b32_e64 v48, 0, v48, s[36:37]
	v_cndmask_b32_e64 v47, 0, v47, s[36:37]
	v_cndmask_b32_e64 v46, 0, v46, s[36:37]
	v_cmp_gt_i32_e64 s[40:41], s65, v155
	ds_write_b128 v54, v[58:61] offset:512
	v_add3_u32 v54, v54, s70, v69
	;; [unrolled: 9-line block ×12, first 2 shown]
	s_waitcnt vmcnt(29)
	v_cndmask_b32_e64 v13, 0, v13, s[60:61]
	v_cndmask_b32_e64 v12, 0, v12, s[60:61]
	v_cndmask_b32_e64 v11, 0, v11, s[60:61]
	v_cndmask_b32_e64 v10, 0, v10, s[60:61]
	v_cmp_gt_i32_e64 s[62:63], s65, v166
	ds_write_b128 v14, v[6:9] offset:512
	v_add3_u32 v6, v14, s70, v81
	s_waitcnt vmcnt(28)
	v_cndmask_b32_e64 v5, 0, v5, s[62:63]
	v_cndmask_b32_e64 v4, 0, v4, s[62:63]
	;; [unrolled: 1-line block ×4, first 2 shown]
	ds_write_b128 v6, v[10:13] offset:512
	v_add3_u32 v6, v6, s70, v83
	buffer_store_dword v0, off, s[88:91], 0 offset:768 ; 4-byte Folded Spill
	ds_write_b128 v6, v[2:5] offset:512
	v_lshlrev_b32_e32 v2, 1, v170
	v_add_u32_e32 v3, s67, v170
	v_lshlrev_b32_e32 v4, 1, v3
	buffer_load_dwordx4 v[126:129], v2, s[72:75], 0 offen
	buffer_load_dwordx4 v[122:125], v4, s[72:75], 0 offen
	v_add_u32_e32 v2, s67, v3
	v_lshlrev_b32_e32 v3, 1, v2
	v_add_u32_e32 v2, s67, v2
	v_lshlrev_b32_e32 v4, 1, v2
	v_add_u32_e32 v2, s67, v2
	buffer_load_dwordx4 v[118:121], v3, s[72:75], 0 offen
	buffer_load_dwordx4 v[114:117], v4, s[72:75], 0 offen
	v_lshlrev_b32_e32 v3, 1, v2
	v_add_u32_e32 v2, s67, v2
	v_lshlrev_b32_e32 v4, 1, v2
	v_add_u32_e32 v2, s67, v2
	buffer_load_dwordx4 v[110:113], v3, s[72:75], 0 offen
	buffer_load_dwordx4 v[106:109], v4, s[72:75], 0 offen
	;; [unrolled: 6-line block ×6, first 2 shown]
	v_lshlrev_b32_e32 v3, 1, v2
	v_add_lshl_u32 v2, v2, s67, 1
	buffer_load_dwordx4 v[70:73], v3, s[72:75], 0 offen
	buffer_load_dwordx4 v[66:69], v2, s[72:75], 0 offen
	v_lshlrev_b32_e32 v2, 1, v171
	v_add_u32_e32 v3, s68, v171
	v_lshlrev_b32_e32 v4, 1, v3
	buffer_load_dwordx4 v[62:65], v2, s[76:79], 0 offen
	buffer_load_dwordx4 v[58:61], v4, s[76:79], 0 offen
	v_add_u32_e32 v2, s68, v3
	v_lshlrev_b32_e32 v3, 1, v2
	v_add_u32_e32 v2, s68, v2
	v_lshlrev_b32_e32 v4, 1, v2
	v_add_u32_e32 v2, s68, v2
	buffer_load_dwordx4 v[54:57], v3, s[76:79], 0 offen
	buffer_load_dwordx4 v[50:53], v4, s[76:79], 0 offen
	v_lshlrev_b32_e32 v3, 1, v2
	v_add_u32_e32 v2, s68, v2
	v_lshlrev_b32_e32 v4, 1, v2
	v_add_u32_e32 v2, s68, v2
	buffer_load_dwordx4 v[34:37], v3, s[76:79], 0 offen
	buffer_load_dwordx4 v[42:45], v4, s[76:79], 0 offen
	v_lshlrev_b32_e32 v3, 1, v2
	v_add_u32_e32 v2, s68, v2
	v_lshlrev_b32_e32 v4, 1, v2
	buffer_load_dwordx4 v[38:41], v3, s[76:79], 0 offen
	s_nop 0
	buffer_load_dwordx4 v[4:7], v4, s[76:79], 0 offen
	v_add_u32_e32 v2, s68, v2
	s_waitcnt vmcnt(0)
	buffer_store_dword v4, off, s[88:91], 0 offset:280 ; 4-byte Folded Spill
	s_nop 0
	buffer_store_dword v5, off, s[88:91], 0 offset:284 ; 4-byte Folded Spill
	buffer_store_dword v6, off, s[88:91], 0 offset:288 ; 4-byte Folded Spill
	buffer_store_dword v7, off, s[88:91], 0 offset:292 ; 4-byte Folded Spill
	v_lshlrev_b32_e32 v3, 1, v2
	buffer_load_dwordx4 v[6:9], v3, s[76:79], 0 offen
	v_add_u32_e32 v2, s68, v2
	v_lshlrev_b32_e32 v4, 1, v2
	s_waitcnt vmcnt(0)
	buffer_store_dword v6, off, s[88:91], 0 offset:264 ; 4-byte Folded Spill
	s_nop 0
	buffer_store_dword v7, off, s[88:91], 0 offset:268 ; 4-byte Folded Spill
	buffer_store_dword v8, off, s[88:91], 0 offset:272 ; 4-byte Folded Spill
	buffer_store_dword v9, off, s[88:91], 0 offset:276 ; 4-byte Folded Spill
	buffer_load_dwordx4 v[4:7], v4, s[76:79], 0 offen
	v_add_u32_e32 v2, s68, v2
	s_waitcnt vmcnt(0)
	buffer_store_dword v4, off, s[88:91], 0 offset:248 ; 4-byte Folded Spill
	s_nop 0
	buffer_store_dword v5, off, s[88:91], 0 offset:252 ; 4-byte Folded Spill
	buffer_store_dword v6, off, s[88:91], 0 offset:256 ; 4-byte Folded Spill
	buffer_store_dword v7, off, s[88:91], 0 offset:260 ; 4-byte Folded Spill
	v_lshlrev_b32_e32 v3, 1, v2
	buffer_load_dwordx4 v[6:9], v3, s[76:79], 0 offen
	v_add_u32_e32 v2, s68, v2
	v_lshlrev_b32_e32 v4, 1, v2
	s_waitcnt vmcnt(0)
	buffer_store_dword v6, off, s[88:91], 0 offset:232 ; 4-byte Folded Spill
	s_nop 0
	buffer_store_dword v7, off, s[88:91], 0 offset:236 ; 4-byte Folded Spill
	buffer_store_dword v8, off, s[88:91], 0 offset:240 ; 4-byte Folded Spill
	buffer_store_dword v9, off, s[88:91], 0 offset:244 ; 4-byte Folded Spill
	;; [unrolled: 18-line block ×3, first 2 shown]
	buffer_load_dwordx4 v[4:7], v4, s[76:79], 0 offen
	v_add_u32_e32 v2, s68, v2
	s_waitcnt vmcnt(0)
	buffer_store_dword v4, off, s[88:91], 0 offset:184 ; 4-byte Folded Spill
	s_nop 0
	buffer_store_dword v5, off, s[88:91], 0 offset:188 ; 4-byte Folded Spill
	buffer_store_dword v6, off, s[88:91], 0 offset:192 ; 4-byte Folded Spill
	;; [unrolled: 1-line block ×3, first 2 shown]
	v_lshlrev_b32_e32 v3, 1, v2
	buffer_load_dwordx4 v[4:7], v3, s[76:79], 0 offen
	v_add_lshl_u32 v2, v2, s68, 1
	s_waitcnt vmcnt(0)
	buffer_store_dword v4, off, s[88:91], 0 offset:168 ; 4-byte Folded Spill
	s_nop 0
	buffer_store_dword v5, off, s[88:91], 0 offset:172 ; 4-byte Folded Spill
	buffer_store_dword v6, off, s[88:91], 0 offset:176 ; 4-byte Folded Spill
	;; [unrolled: 1-line block ×3, first 2 shown]
	buffer_load_dwordx4 v[2:5], v2, s[76:79], 0 offen
	s_waitcnt vmcnt(0)
	buffer_store_dword v2, off, s[88:91], 0 offset:152 ; 4-byte Folded Spill
	s_nop 0
	buffer_store_dword v3, off, s[88:91], 0 offset:156 ; 4-byte Folded Spill
	buffer_store_dword v4, off, s[88:91], 0 offset:160 ; 4-byte Folded Spill
	;; [unrolled: 1-line block ×3, first 2 shown]
	v_and_b32_e32 v143, 15, v0
	v_or_b32_e32 v3, 1, v144
	v_lshlrev_b32_e32 v2, 9, v143
	v_xor_b32_e32 v4, v3, v143
	v_lshl_or_b32 v0, v4, 4, v2
	v_or_b32_e32 v4, 2, v144
	v_xor_b32_e32 v5, v4, v143
	buffer_store_dword v0, off, s[88:91], 0 offset:104 ; 4-byte Folded Spill
	v_lshl_or_b32 v0, v5, 4, v2
	v_or_b32_e32 v5, 3, v144
	v_xor_b32_e32 v6, v5, v143
	buffer_store_dword v0, off, s[88:91], 0 offset:108 ; 4-byte Folded Spill
	;; [unrolled: 4-line block ×5, first 2 shown]
	v_lshl_or_b32 v0, v9, 4, v2
	v_or_b32_e32 v9, 7, v144
	v_xor_b32_e32 v140, v144, v143
	v_xor_b32_e32 v10, v9, v143
	v_or_b32_e32 v1, 15, v1
	v_lshl_or_b32 v11, v140, 4, v2
	buffer_store_dword v0, off, s[88:91], 0 offset:640 ; 4-byte Folded Spill
	v_lshl_or_b32 v0, v10, 4, v2
	v_or_b32_e32 v2, 16, v143
	v_xor_b32_e32 v1, v1, v172
	v_xor_b32_sdwa v10, v144, v2 dst_sel:DWORD dst_unused:UNUSED_PAD src0_sel:DWORD src1_sel:WORD_0
	v_xor_b32_sdwa v3, v3, v2 dst_sel:DWORD dst_unused:UNUSED_PAD src0_sel:DWORD src1_sel:WORD_0
	;; [unrolled: 1-line block ×8, first 2 shown]
	v_sub_u32_e32 v9, v1, v168
	buffer_store_dword v0, off, s[88:91], 0 offset:644 ; 4-byte Folded Spill
	v_lshlrev_b32_e32 v0, 3, v9
	buffer_store_dword v0, off, s[88:91], 0 offset:756 ; 4-byte Folded Spill
	v_add_u32_e32 v0, 0x100, v0
	v_sub_u32_e32 v1, v137, v1
	v_mov_b32_e32 v9, 0xfffff100
	buffer_store_dword v0, off, s[88:91], 0 offset:692 ; 4-byte Folded Spill
	v_lshl_add_u32 v0, v1, 3, v9
	buffer_store_dword v0, off, s[88:91], 0 offset:696 ; 4-byte Folded Spill
	v_mul_lo_u32 v0, s68, v166
	v_lshlrev_b32_e32 v0, 1, v0
	buffer_store_dword v0, off, s[88:91], 0 offset:344 ; 4-byte Folded Spill
	v_mul_lo_u32 v0, s68, v165
	v_lshlrev_b32_e32 v230, 1, v0
	v_mul_lo_u32 v0, s68, v164
	v_lshlrev_b32_e32 v0, 1, v0
	buffer_store_dword v0, off, s[88:91], 0 offset:348 ; 4-byte Folded Spill
	v_mul_lo_u32 v0, s68, v163
	v_lshlrev_b32_e32 v0, 1, v0
	buffer_store_dword v0, off, s[88:91], 0 offset:352 ; 4-byte Folded Spill
	;; [unrolled: 3-line block ×4, first 2 shown]
	v_mul_lo_u32 v0, s68, v160
	v_lshlrev_b32_e32 v208, 1, v0
	v_mul_lo_u32 v0, s68, v159
	v_lshlrev_b32_e32 v209, 1, v0
	;; [unrolled: 2-line block ×3, first 2 shown]
	buffer_store_dword v0, off, s[88:91], 0 ; 4-byte Folded Spill
	v_mul_lo_u32 v0, s68, v157
	v_lshlrev_b32_e32 v0, 1, v0
	buffer_store_dword v0, off, s[88:91], 0 offset:4 ; 4-byte Folded Spill
	v_mul_lo_u32 v0, s68, v156
	v_lshlrev_b32_e32 v0, 1, v0
	buffer_store_dword v0, off, s[88:91], 0 offset:364 ; 4-byte Folded Spill
	;; [unrolled: 3-line block ×6, first 2 shown]
	v_lshlrev_b32_e32 v0, 1, v132
	buffer_store_dword v0, off, s[88:91], 0 offset:376 ; 4-byte Folded Spill
	v_mul_lo_u32 v0, s67, v151
	v_lshlrev_b32_e32 v0, 1, v0
	buffer_store_dword v0, off, s[88:91], 0 offset:40 ; 4-byte Folded Spill
	v_mul_lo_u32 v0, s67, v150
	;; [unrolled: 3-line block ×14, first 2 shown]
	v_lshlrev_b32_e32 v0, 1, v0
	v_sub_u32_e32 v10, v10, v140
	buffer_store_dword v0, off, s[88:91], 0 offset:96 ; 4-byte Folded Spill
	v_mul_lo_u32 v0, s67, v131
	v_lshlrev_b32_e32 v10, 4, v10
	v_sub_u32_e32 v3, v3, v140
	v_lshlrev_b32_e32 v0, 1, v0
	v_lshlrev_b32_e32 v3, 4, v3
	v_sub_u32_e32 v4, v4, v140
	buffer_store_dword v0, off, s[88:91], 0 offset:100 ; 4-byte Folded Spill
	v_add_u32_e32 v0, v11, v10
	v_lshlrev_b32_e32 v4, 4, v4
	v_sub_u32_e32 v5, v5, v140
	buffer_store_dword v0, off, s[88:91], 0 offset:144 ; 4-byte Folded Spill
	v_add_u32_e32 v0, v11, v3
	;; [unrolled: 4-line block ×6, first 2 shown]
	v_lshlrev_b32_e32 v2, 4, v2
	buffer_store_dword v0, off, s[88:91], 0 offset:124 ; 4-byte Folded Spill
	v_add_u32_e32 v0, v11, v8
	v_mov_b32_e32 v12, 0
	buffer_store_dword v0, off, s[88:91], 0 offset:120 ; 4-byte Folded Spill
	buffer_store_dword v11, off, s[88:91], 0 offset:148 ; 4-byte Folded Spill
	v_add_u32_e32 v0, v11, v2
	buffer_store_dword v0, off, s[88:91], 0 offset:116 ; 4-byte Folded Spill
	v_mov_b32_e32 v13, v12
	v_mov_b32_e32 v14, v12
	;; [unrolled: 1-line block ×7, first 2 shown]
	buffer_store_dword v0, off, s[88:91], 0 offset:296 ; 4-byte Folded Spill
	s_nop 0
	buffer_store_dword v1, off, s[88:91], 0 offset:300 ; 4-byte Folded Spill
	buffer_store_dword v2, off, s[88:91], 0 offset:304 ; 4-byte Folded Spill
	;; [unrolled: 1-line block ×4, first 2 shown]
	s_nop 0
	buffer_store_dword v1, off, s[88:91], 0 offset:316 ; 4-byte Folded Spill
	buffer_store_dword v2, off, s[88:91], 0 offset:320 ; 4-byte Folded Spill
	;; [unrolled: 1-line block ×3, first 2 shown]
	v_mov_b32_e32 v28, v12
	v_mov_b32_e32 v29, v12
	;; [unrolled: 1-line block ×3, first 2 shown]
	buffer_store_dword v12, off, s[88:91], 0 offset:328 ; 4-byte Folded Spill
	s_nop 0
	buffer_store_dword v13, off, s[88:91], 0 offset:332 ; 4-byte Folded Spill
	buffer_store_dword v14, off, s[88:91], 0 offset:336 ; 4-byte Folded Spill
	;; [unrolled: 1-line block ×3, first 2 shown]
	s_movk_i32 s86, 0x4000
	s_add_i32 s87, s87, -2
	v_lshlrev_b32_e32 v231, 4, v172
	v_lshlrev_b32_e32 v203, 1, v130
	v_mov_b32_e32 v202, v149
	v_mov_b32_e32 v31, v12
.LBB4_12:                               ; =>This Inner Loop Header: Depth=1
	buffer_store_dword v209, off, s[88:91], 0 offset:396 ; 4-byte Folded Spill
	buffer_store_dword v208, off, s[88:91], 0 offset:392 ; 4-byte Folded Spill
	;; [unrolled: 1-line block ×3, first 2 shown]
	s_waitcnt lgkmcnt(0)
	; wave barrier
	buffer_load_dword v0, off, s[88:91], 0 offset:148 ; 4-byte Folded Reload
	buffer_load_dword v245, off, s[88:91], 0 offset:636 ; 4-byte Folded Reload
	buffer_load_dword v244, off, s[88:91], 0 offset:644 ; 4-byte Folded Reload
	v_mov_b32_e32 v32, v149
	buffer_load_dword v247, off, s[88:91], 0 offset:632 ; 4-byte Folded Reload
	buffer_load_dword v246, off, s[88:91], 0 offset:640 ; 4-byte Folded Reload
	s_waitcnt vmcnt(4)
	ds_read_b128 v[210:213], v0
	v_mov_b32_e32 v3, v0
	s_waitcnt vmcnt(2)
	ds_read_b128 v[150:153], v244
	buffer_load_dword v0, off, s[88:91], 0 offset:104 ; 4-byte Folded Reload
	ds_read_b128 v[194:197], v245
	s_waitcnt vmcnt(2)
	ds_read_b128 v[222:225], v247
	s_waitcnt vmcnt(1)
	;; [unrolled: 2-line block ×3, first 2 shown]
	ds_read_b128 v[214:217], v0
	v_mov_b32_e32 v2, v0
	buffer_load_dword v0, off, s[88:91], 0 offset:108 ; 4-byte Folded Reload
	s_waitcnt vmcnt(0)
	ds_read_b128 v[218:221], v0
	v_mov_b32_e32 v1, v0
	buffer_load_dword v0, off, s[88:91], 0 offset:112 ; 4-byte Folded Reload
	s_waitcnt vmcnt(0)
	;; [unrolled: 4-line block ×3, first 2 shown]
	ds_read_b128 v[226:229], v0 offset:8192
	v_mov_b32_e32 v5, v0
	buffer_load_dword v0, off, s[88:91], 0 offset:140 ; 4-byte Folded Reload
	s_waitcnt vmcnt(0)
	ds_read_b128 v[204:207], v0 offset:8192
	v_mov_b32_e32 v9, v0
	buffer_load_dword v0, off, s[88:91], 0 offset:136 ; 4-byte Folded Reload
	s_waitcnt vmcnt(0)
	;; [unrolled: 4-line block ×7, first 2 shown]
	ds_read_b128 v[146:149], v0 offset:8192
	v_mov_b32_e32 v33, v0
	ds_read_b128 v[232:235], v3 offset:16384
	ds_read_b128 v[236:239], v2 offset:16384
	;; [unrolled: 1-line block ×16, first 2 shown]
	; sched_barrier mask(0x00000000)
	; wave barrier
	; sched_barrier mask(0x00000000)
	s_waitcnt lgkmcnt(14)
	v_mfma_f32_16x16x16f16 v[142:145], v[210:211], v[232:233], v[28:31]
	v_mfma_f32_16x16x16f16 v[142:145], v[212:213], v[234:235], v[142:145]
	; sched_barrier mask(0x00000000)
	s_setprio 1
	; sched_barrier mask(0x00000000)
	buffer_load_dword v46, off, s[88:91], 0 offset:312 ; 4-byte Folded Reload
	buffer_load_dword v47, off, s[88:91], 0 offset:316 ; 4-byte Folded Reload
	buffer_load_dword v48, off, s[88:91], 0 offset:320 ; 4-byte Folded Reload
	buffer_load_dword v49, off, s[88:91], 0 offset:324 ; 4-byte Folded Reload
	s_waitcnt vmcnt(0) lgkmcnt(7)
	v_mfma_f32_16x16x16f16 v[138:141], v[210:211], v[4:5], v[46:49]
	s_nop 6
	buffer_load_dword v46, off, s[88:91], 0 offset:296 ; 4-byte Folded Reload
	buffer_load_dword v47, off, s[88:91], 0 offset:300 ; 4-byte Folded Reload
	;; [unrolled: 1-line block ×8, first 2 shown]
	v_mfma_f32_16x16x16f16 v[138:141], v[212:213], v[6:7], v[138:141]
	s_waitcnt lgkmcnt(6)
	v_mfma_f32_16x16x16f16 v[138:141], v[214:215], v[8:9], v[138:141]
	v_mfma_f32_16x16x16f16 v[138:141], v[216:217], v[10:11], v[138:141]
	s_waitcnt vmcnt(4)
	v_mfma_f32_16x16x16f16 v[134:137], v[226:227], v[232:233], v[46:49]
	v_mfma_f32_16x16x16f16 v[134:137], v[228:229], v[234:235], v[134:137]
	s_waitcnt vmcnt(0)
	v_mfma_f32_16x16x16f16 v[130:133], v[226:227], v[4:5], v[28:31]
	v_mfma_f32_16x16x16f16 v[4:7], v[228:229], v[6:7], v[130:133]
	v_mfma_f32_16x16x16f16 v[130:133], v[214:215], v[236:237], v[142:145]
	v_mfma_f32_16x16x16f16 v[134:137], v[204:205], v[236:237], v[134:137]
	v_mfma_f32_16x16x16f16 v[130:133], v[216:217], v[238:239], v[130:133]
	v_mfma_f32_16x16x16f16 v[134:137], v[206:207], v[238:239], v[134:137]
	v_mfma_f32_16x16x16f16 v[4:7], v[204:205], v[8:9], v[4:7]
	v_mfma_f32_16x16x16f16 v[4:7], v[206:207], v[10:11], v[4:7]
	v_mfma_f32_16x16x16f16 v[8:11], v[218:219], v[240:241], v[130:133]
	s_waitcnt lgkmcnt(5)
	v_mfma_f32_16x16x16f16 v[130:133], v[218:219], v[12:13], v[138:141]
	v_mfma_f32_16x16x16f16 v[134:137], v[248:249], v[240:241], v[134:137]
	;; [unrolled: 1-line block ×8, first 2 shown]
	s_waitcnt lgkmcnt(4)
	v_mfma_f32_16x16x16f16 v[12:15], v[222:223], v[16:17], v[130:133]
	v_mfma_f32_16x16x16f16 v[130:133], v[252:253], v[198:199], v[134:137]
	;; [unrolled: 1-line block ×10, first 2 shown]
	s_waitcnt lgkmcnt(3)
	v_mfma_f32_16x16x16f16 v[12:15], v[194:195], v[20:21], v[12:15]
	v_mfma_f32_16x16x16f16 v[0:3], v[192:193], v[2:3], v[16:19]
	v_mfma_f32_16x16x16f16 v[12:15], v[196:197], v[22:23], v[12:15]
	v_mfma_f32_16x16x16f16 v[8:11], v[178:179], v[186:187], v[8:11]
	v_mfma_f32_16x16x16f16 v[0:3], v[174:175], v[186:187], v[0:3]
	v_mfma_f32_16x16x16f16 v[4:7], v[190:191], v[20:21], v[4:7]
	v_mfma_f32_16x16x16f16 v[8:11], v[180:181], v[188:189], v[8:11]
	s_waitcnt lgkmcnt(2)
	v_mfma_f32_16x16x16f16 v[12:15], v[178:179], v[24:25], v[12:15]
	v_mfma_f32_16x16x16f16 v[0:3], v[176:177], v[188:189], v[0:3]
	v_mfma_f32_16x16x16f16 v[4:7], v[192:193], v[22:23], v[4:7]
	v_mfma_f32_16x16x16f16 v[12:15], v[180:181], v[26:27], v[12:15]
	v_mfma_f32_16x16x16f16 v[8:11], v[166:167], v[170:171], v[8:11]
	v_mfma_f32_16x16x16f16 v[0:3], v[158:159], v[170:171], v[0:3]
	v_mfma_f32_16x16x16f16 v[4:7], v[174:175], v[24:25], v[4:7]
	v_mfma_f32_16x16x16f16 v[8:11], v[168:169], v[172:173], v[8:11]
	s_waitcnt lgkmcnt(1)
	v_mfma_f32_16x16x16f16 v[12:15], v[166:167], v[182:183], v[12:15]
	;; [unrolled: 9-line block ×3, first 2 shown]
	v_mfma_f32_16x16x16f16 v[0:3], v[148:149], v[156:157], v[0:3]
	s_nop 7
	s_nop 2
	buffer_store_dword v0, off, s[88:91], 0 offset:296 ; 4-byte Folded Spill
	s_nop 0
	buffer_store_dword v1, off, s[88:91], 0 offset:300 ; 4-byte Folded Spill
	buffer_store_dword v2, off, s[88:91], 0 offset:304 ; 4-byte Folded Spill
	;; [unrolled: 1-line block ×3, first 2 shown]
	v_mfma_f32_16x16x16f16 v[4:7], v[160:161], v[184:185], v[4:7]
	v_mfma_f32_16x16x16f16 v[214:217], v[152:153], v[164:165], v[8:11]
	; sched_barrier mask(0x00000000)
	s_waitcnt lgkmcnt(0)
	; wave barrier
	; sched_barrier mask(0x00000000)
	v_mfma_f32_16x16x16f16 v[0:3], v[146:147], v[162:163], v[4:7]
	v_mfma_f32_16x16x16f16 v[0:3], v[148:149], v[164:165], v[0:3]
	s_nop 7
	s_nop 2
	buffer_store_dword v0, off, s[88:91], 0 offset:312 ; 4-byte Folded Spill
	s_nop 0
	buffer_store_dword v1, off, s[88:91], 0 offset:316 ; 4-byte Folded Spill
	buffer_store_dword v2, off, s[88:91], 0 offset:320 ; 4-byte Folded Spill
	;; [unrolled: 1-line block ×3, first 2 shown]
	; sched_barrier mask(0x00000000)
	s_setprio 0
	; sched_barrier mask(0x00000000)
	v_cndmask_b32_e64 v3, 0, v129, s[4:5]
	v_cndmask_b32_e64 v2, 0, v128, s[4:5]
	;; [unrolled: 1-line block ×4, first 2 shown]
	v_lshlrev_b32_e32 v28, 1, v32
	ds_write_b128 v28, v[0:3]
	buffer_load_dword v1, off, s[88:91], 0 offset:700 ; 4-byte Folded Reload
	buffer_load_dword v218, off, s[88:91], 0 offset:696 ; 4-byte Folded Reload
	v_cndmask_b32_e64 v24, 0, v102, s[10:11]
	v_cndmask_b32_e32 v7, 0, v125, vcc
	v_cndmask_b32_e32 v6, 0, v124, vcc
	;; [unrolled: 1-line block ×4, first 2 shown]
	v_cndmask_b32_e64 v20, 0, v106, s[8:9]
	v_cndmask_b32_e64 v11, 0, v121, s[0:1]
	;; [unrolled: 1-line block ×55, first 2 shown]
	buffer_store_dword v32, off, s[88:91], 0 offset:764 ; 4-byte Folded Spill
	s_waitcnt vmcnt(2)
	v_lshlrev_b32_e32 v2, 1, v1
	v_add_u32_e32 v0, v28, v2
	v_mov_b32_e32 v102, v2
	buffer_load_dword v2, off, s[88:91], 0 offset:704 ; 4-byte Folded Reload
	ds_write_b128 v0, v[4:7] offset:512
	v_add_u32_e32 v190, 0x100, v1
	v_mov_b32_e32 v103, v190
	buffer_store_dword v102, off, s[88:91], 0 offset:600 ; 4-byte Folded Spill
	v_cndmask_b32_e64 v7, 0, v61, s[30:31]
	v_cndmask_b32_e64 v6, 0, v60, s[30:31]
	;; [unrolled: 1-line block ×4, first 2 shown]
	s_waitcnt vmcnt(1)
	v_add_u32_e32 v3, 0x100, v2
	v_lshlrev_b32_e32 v2, 1, v2
	v_add3_u32 v0, v0, s70, v2
	v_mov_b32_e32 v106, v2
	buffer_load_dword v2, off, s[88:91], 0 offset:708 ; 4-byte Folded Reload
	v_add3_u32 v1, v32, v190, v3
	v_mov_b32_e32 v104, v3
	ds_write_b128 v0, v[8:11] offset:512
	buffer_store_dword v106, off, s[88:91], 0 offset:596 ; 4-byte Folded Spill
	v_cndmask_b32_e64 v11, 0, v57, s[34:35]
	v_cndmask_b32_e64 v10, 0, v56, s[34:35]
	;; [unrolled: 1-line block ×4, first 2 shown]
	s_waitcnt vmcnt(1)
	v_lshlrev_b32_e32 v3, 1, v2
	v_add3_u32 v0, v0, s70, v3
	v_mov_b32_e32 v105, v3
	v_add_u32_e32 v3, 0x100, v2
	buffer_load_dword v2, off, s[88:91], 0 offset:712 ; 4-byte Folded Reload
	ds_write_b128 v0, v[12:15] offset:512
	v_mov_b32_e32 v107, v3
	buffer_store_dword v105, off, s[88:91], 0 offset:592 ; 4-byte Folded Spill
	v_cndmask_b32_e64 v15, 0, v53, s[36:37]
	v_cndmask_b32_e64 v14, 0, v52, s[36:37]
	;; [unrolled: 1-line block ×4, first 2 shown]
	s_waitcnt vmcnt(1)
	v_add_u32_e32 v190, 0x100, v2
	v_lshlrev_b32_e32 v2, 1, v2
	v_add3_u32 v0, v0, s70, v2
	v_mov_b32_e32 v110, v2
	buffer_load_dword v2, off, s[88:91], 0 offset:716 ; 4-byte Folded Reload
	v_add3_u32 v1, v1, v3, v190
	ds_write_b128 v0, v[16:19] offset:512
	v_mov_b32_e32 v108, v190
	buffer_store_dword v110, off, s[88:91], 0 offset:588 ; 4-byte Folded Spill
	v_cndmask_b32_e64 v19, 0, v37, s[40:41]
	v_cndmask_b32_e64 v18, 0, v36, s[40:41]
	;; [unrolled: 1-line block ×4, first 2 shown]
	s_waitcnt vmcnt(1)
	v_lshlrev_b32_e32 v3, 1, v2
	v_add3_u32 v0, v0, s70, v3
	v_mov_b32_e32 v109, v3
	v_add_u32_e32 v3, 0x100, v2
	buffer_load_dword v2, off, s[88:91], 0 offset:720 ; 4-byte Folded Reload
	ds_write_b128 v0, v[20:23] offset:512
	v_mov_b32_e32 v111, v3
	buffer_store_dword v109, off, s[88:91], 0 offset:584 ; 4-byte Folded Spill
	v_cndmask_b32_e64 v23, 0, v45, s[42:43]
	v_cndmask_b32_e64 v22, 0, v44, s[42:43]
	;; [unrolled: 1-line block ×4, first 2 shown]
	s_waitcnt vmcnt(1)
	v_add_u32_e32 v190, 0x100, v2
	v_lshlrev_b32_e32 v2, 1, v2
	v_add3_u32 v0, v0, s70, v2
	v_mov_b32_e32 v113, v2
	buffer_load_dword v2, off, s[88:91], 0 offset:724 ; 4-byte Folded Reload
	v_add3_u32 v1, v1, v3, v190
	ds_write_b128 v0, v[24:27] offset:512
	v_mov_b32_e32 v112, v190
	buffer_store_dword v113, off, s[88:91], 0 offset:612 ; 4-byte Folded Spill
	v_cndmask_b32_e64 v27, 0, v41, s[44:45]
	v_cndmask_b32_e64 v26, 0, v40, s[44:45]
	;; [unrolled: 1-line block ×4, first 2 shown]
	s_waitcnt vmcnt(1)
	v_lshlrev_b32_e32 v3, 1, v2
	v_add3_u32 v0, v0, s70, v3
	v_mov_b32_e32 v114, v3
	v_add_u32_e32 v3, 0x100, v2
	buffer_load_dword v2, off, s[88:91], 0 offset:728 ; 4-byte Folded Reload
	ds_write_b128 v0, v[98:101] offset:512
	v_mov_b32_e32 v98, v3
	buffer_store_dword v114, off, s[88:91], 0 offset:616 ; 4-byte Folded Spill
	s_waitcnt vmcnt(1)
	v_add_u32_e32 v190, 0x100, v2
	v_lshlrev_b32_e32 v255, 1, v2
	buffer_load_dword v2, off, s[88:91], 0 offset:732 ; 4-byte Folded Reload
	v_add3_u32 v1, v1, v3, v190
	v_add3_u32 v0, v0, s70, v255
	ds_write_b128 v0, v[94:97] offset:512
	v_mov_b32_e32 v99, v190
	s_waitcnt vmcnt(0)
	v_lshlrev_b32_e32 v3, 1, v2
	v_add3_u32 v0, v0, s70, v3
	v_mov_b32_e32 v94, v3
	v_add_u32_e32 v3, 0x100, v2
	buffer_load_dword v2, off, s[88:91], 0 offset:736 ; 4-byte Folded Reload
	ds_write_b128 v0, v[90:93] offset:512
	v_mov_b32_e32 v90, v3
	buffer_store_dword v94, off, s[88:91], 0 offset:564 ; 4-byte Folded Spill
	s_waitcnt vmcnt(1)
	v_add_u32_e32 v190, 0x100, v2
	v_lshlrev_b32_e32 v2, 1, v2
	v_add3_u32 v0, v0, s70, v2
	v_mov_b32_e32 v92, v2
	buffer_load_dword v2, off, s[88:91], 0 offset:740 ; 4-byte Folded Reload
	v_add3_u32 v1, v1, v3, v190
	ds_write_b128 v0, v[86:89] offset:512
	v_mov_b32_e32 v91, v190
	buffer_store_dword v92, off, s[88:91], 0 offset:560 ; 4-byte Folded Spill
	s_waitcnt vmcnt(1)
	v_lshlrev_b32_e32 v3, 1, v2
	v_add3_u32 v0, v0, s70, v3
	v_mov_b32_e32 v86, v3
	v_add_u32_e32 v3, 0x100, v2
	buffer_load_dword v2, off, s[88:91], 0 offset:744 ; 4-byte Folded Reload
	ds_write_b128 v0, v[82:85] offset:512
	v_mov_b32_e32 v82, v3
	buffer_store_dword v86, off, s[88:91], 0 offset:604 ; 4-byte Folded Spill
	s_waitcnt vmcnt(1)
	v_add_u32_e32 v190, 0x100, v2
	v_lshlrev_b32_e32 v2, 1, v2
	v_add3_u32 v0, v0, s70, v2
	v_mov_b32_e32 v84, v2
	buffer_load_dword v2, off, s[88:91], 0 offset:748 ; 4-byte Folded Reload
	v_add3_u32 v1, v1, v3, v190
	ds_write_b128 v0, v[78:81] offset:512
	v_mov_b32_e32 v83, v190
	buffer_store_dword v84, off, s[88:91], 0 offset:608 ; 4-byte Folded Spill
	s_waitcnt vmcnt(1)
	v_lshlrev_b32_e32 v3, 1, v2
	v_add3_u32 v0, v0, s70, v3
	v_mov_b32_e32 v78, v3
	v_add_u32_e32 v3, 0x100, v2
	buffer_load_dword v2, off, s[88:91], 0 offset:752 ; 4-byte Folded Reload
	ds_write_b128 v0, v[74:77] offset:512
	v_mov_b32_e32 v74, v3
	buffer_store_dword v78, off, s[88:91], 0 offset:556 ; 4-byte Folded Spill
	s_waitcnt vmcnt(1)
	v_add_u32_e32 v190, 0x100, v2
	v_lshlrev_b32_e32 v2, 1, v2
	v_add3_u32 v0, v0, s70, v2
	v_mov_b32_e32 v76, v2
	buffer_load_dword v2, off, s[88:91], 0 offset:756 ; 4-byte Folded Reload
	v_add3_u32 v1, v1, v3, v190
	v_mov_b32_e32 v75, v190
	ds_write_b128 v0, v[70:73] offset:512
	buffer_store_dword v76, off, s[88:91], 0 offset:532 ; 4-byte Folded Spill
	s_waitcnt vmcnt(1)
	v_lshlrev_b32_e32 v3, 1, v2
	v_add3_u32 v0, v0, s70, v3
	v_add_u32_e32 v190, 0x100, v2
	buffer_store_dword v0, off, s[88:91], 0 offset:464 ; 4-byte Folded Spill
	v_mov_b32_e32 v70, v3
	ds_write_b128 v0, v[66:69] offset:512
	v_add3_u32 v0, v1, v190, v218
	buffer_store_dword v70, off, s[88:91], 0 offset:536 ; 4-byte Folded Spill
	buffer_store_dword v0, off, s[88:91], 0 offset:460 ; 4-byte Folded Spill
	buffer_load_dword v28, off, s[88:91], 0 offset:280 ; 4-byte Folded Reload
	buffer_load_dword v29, off, s[88:91], 0 offset:284 ; 4-byte Folded Reload
	;; [unrolled: 1-line block ×4, first 2 shown]
	v_cndmask_b32_e64 v3, 0, v65, s[38:39]
	v_cndmask_b32_e64 v2, 0, v64, s[38:39]
	;; [unrolled: 1-line block ×4, first 2 shown]
	s_waitcnt vmcnt(0)
	v_cndmask_b32_e64 v37, 0, v31, s[46:47]
	v_cndmask_b32_e64 v36, 0, v30, s[46:47]
	;; [unrolled: 1-line block ×4, first 2 shown]
	buffer_load_dword v28, off, s[88:91], 0 offset:264 ; 4-byte Folded Reload
	buffer_load_dword v29, off, s[88:91], 0 offset:268 ; 4-byte Folded Reload
	buffer_load_dword v30, off, s[88:91], 0 offset:272 ; 4-byte Folded Reload
	buffer_load_dword v31, off, s[88:91], 0 offset:276 ; 4-byte Folded Reload
	buffer_load_dword v38, off, s[88:91], 0 offset:248 ; 4-byte Folded Reload
	buffer_load_dword v39, off, s[88:91], 0 offset:252 ; 4-byte Folded Reload
	buffer_load_dword v40, off, s[88:91], 0 offset:256 ; 4-byte Folded Reload
	buffer_load_dword v41, off, s[88:91], 0 offset:260 ; 4-byte Folded Reload
	buffer_load_dword v42, off, s[88:91], 0 offset:232 ; 4-byte Folded Reload
	buffer_load_dword v43, off, s[88:91], 0 offset:236 ; 4-byte Folded Reload
	buffer_load_dword v44, off, s[88:91], 0 offset:240 ; 4-byte Folded Reload
	buffer_load_dword v45, off, s[88:91], 0 offset:244 ; 4-byte Folded Reload
	buffer_load_dword v46, off, s[88:91], 0 offset:216 ; 4-byte Folded Reload
	buffer_load_dword v47, off, s[88:91], 0 offset:220 ; 4-byte Folded Reload
	buffer_load_dword v48, off, s[88:91], 0 offset:224 ; 4-byte Folded Reload
	buffer_load_dword v49, off, s[88:91], 0 offset:228 ; 4-byte Folded Reload
	buffer_load_dword v50, off, s[88:91], 0 offset:200 ; 4-byte Folded Reload
	buffer_load_dword v51, off, s[88:91], 0 offset:204 ; 4-byte Folded Reload
	buffer_load_dword v52, off, s[88:91], 0 offset:208 ; 4-byte Folded Reload
	buffer_load_dword v53, off, s[88:91], 0 offset:212 ; 4-byte Folded Reload
	buffer_load_dword v54, off, s[88:91], 0 offset:184 ; 4-byte Folded Reload
	buffer_load_dword v55, off, s[88:91], 0 offset:188 ; 4-byte Folded Reload
	buffer_load_dword v56, off, s[88:91], 0 offset:192 ; 4-byte Folded Reload
	buffer_load_dword v57, off, s[88:91], 0 offset:196 ; 4-byte Folded Reload
	buffer_load_dword v58, off, s[88:91], 0 offset:168 ; 4-byte Folded Reload
	buffer_load_dword v59, off, s[88:91], 0 offset:172 ; 4-byte Folded Reload
	buffer_load_dword v60, off, s[88:91], 0 offset:176 ; 4-byte Folded Reload
	buffer_load_dword v61, off, s[88:91], 0 offset:180 ; 4-byte Folded Reload
	buffer_load_dword v62, off, s[88:91], 0 offset:152 ; 4-byte Folded Reload
	buffer_load_dword v63, off, s[88:91], 0 offset:156 ; 4-byte Folded Reload
	buffer_load_dword v64, off, s[88:91], 0 offset:160 ; 4-byte Folded Reload
	buffer_load_dword v65, off, s[88:91], 0 offset:164 ; 4-byte Folded Reload
	s_waitcnt vmcnt(29)
	v_cndmask_b32_e64 v32, 0, v30, s[48:49]
	v_cndmask_b32_e64 v30, 0, v28, s[48:49]
	v_lshlrev_b32_e32 v28, 1, v202
	ds_write_b128 v28, v[0:3] offset:16384
	v_add3_u32 v0, v28, s86, v102
	ds_write_b128 v0, v[4:7] offset:512
	v_add3_u32 v0, v0, s70, v106
	;; [unrolled: 2-line block ×7, first 2 shown]
	s_waitcnt vmcnt(28)
	v_cndmask_b32_e64 v33, 0, v31, s[48:49]
	v_cndmask_b32_e64 v31, 0, v29, s[48:49]
	ds_write_b128 v0, v[34:37] offset:512
	v_add3_u32 v0, v0, s70, v255
	s_waitcnt vmcnt(24)
	v_cndmask_b32_e64 v41, 0, v41, s[50:51]
	v_cndmask_b32_e64 v40, 0, v40, s[50:51]
	v_cndmask_b32_e64 v39, 0, v39, s[50:51]
	v_cndmask_b32_e64 v38, 0, v38, s[50:51]
	v_add3_u32 v1, v202, v103, v104
	ds_write_b128 v0, v[30:33] offset:512
	v_add3_u32 v0, v0, s70, v94
	s_waitcnt vmcnt(20)
	v_cndmask_b32_e64 v45, 0, v45, s[52:53]
	v_cndmask_b32_e64 v44, 0, v44, s[52:53]
	v_cndmask_b32_e64 v43, 0, v43, s[52:53]
	v_cndmask_b32_e64 v42, 0, v42, s[52:53]
	v_add3_u32 v1, v1, v107, v108
	;; [unrolled: 8-line block ×7, first 2 shown]
	ds_write_b128 v0, v[58:61] offset:512
	v_add3_u32 v0, v0, s70, v70
	buffer_store_dword v0, off, s[88:91], 0 offset:456 ; 4-byte Folded Spill
	ds_write_b128 v0, v[62:65] offset:512
	v_add3_u32 v0, v1, v190, v218
	buffer_store_dword v202, off, s[88:91], 0 offset:760 ; 4-byte Folded Spill
	buffer_store_dword v0, off, s[88:91], 0 offset:452 ; 4-byte Folded Spill
	;; [unrolled: 1-line block ×3, first 2 shown]
	buffer_load_dword v0, off, s[88:91], 0 offset:100 ; 4-byte Folded Reload
	v_add_u32_e32 v1, v231, v203
	buffer_store_dword v1, off, s[88:91], 0 offset:152 ; 4-byte Folded Spill
	s_waitcnt vmcnt(1)
	v_add_u32_e32 v0, v231, v0
	buffer_store_dword v0, off, s[88:91], 0 offset:168 ; 4-byte Folded Spill
	buffer_load_dwordx4 v[126:129], v1, s[72:75], 0 offen offset:1024
	buffer_load_dwordx4 v[122:125], v0, s[72:75], 0 offen offset:1024
	s_nop 0
	buffer_load_dword v0, off, s[88:91], 0 offset:96 ; 4-byte Folded Reload
	s_waitcnt vmcnt(0)
	v_add_u32_e32 v1, v231, v0
	buffer_load_dword v0, off, s[88:91], 0 offset:92 ; 4-byte Folded Reload
	s_waitcnt vmcnt(0)
	v_add_u32_e32 v0, v231, v0
	buffer_store_dword v1, off, s[88:91], 0 offset:184 ; 4-byte Folded Spill
	buffer_store_dword v0, off, s[88:91], 0 offset:200 ; 4-byte Folded Spill
	buffer_load_dwordx4 v[118:121], v1, s[72:75], 0 offen offset:1024
	buffer_load_dwordx4 v[114:117], v0, s[72:75], 0 offen offset:1024
	s_nop 0
	buffer_load_dword v0, off, s[88:91], 0 offset:88 ; 4-byte Folded Reload
	s_waitcnt vmcnt(0)
	v_add_u32_e32 v1, v231, v0
	buffer_load_dword v0, off, s[88:91], 0 offset:84 ; 4-byte Folded Reload
	s_waitcnt vmcnt(0)
	v_add_u32_e32 v0, v231, v0
	buffer_store_dword v1, off, s[88:91], 0 offset:232 ; 4-byte Folded Spill
	;; [unrolled: 11-line block ×5, first 2 shown]
	buffer_store_dword v0, off, s[88:91], 0 offset:408 ; 4-byte Folded Spill
	buffer_load_dwordx4 v[86:89], v1, s[72:75], 0 offen offset:1024
	buffer_load_dwordx4 v[82:85], v0, s[72:75], 0 offen offset:1024
	buffer_load_dword v254, off, s[88:91], 0 offset:384 ; 4-byte Folded Reload
	buffer_load_dword v249, off, s[88:91], 0 offset:380 ; 4-byte Folded Reload
	s_waitcnt vmcnt(1)
	v_add_u32_e32 v0, v231, v254
	s_waitcnt vmcnt(0)
	v_add_u32_e32 v1, v231, v249
	buffer_load_dwordx4 v[78:81], v0, s[72:75], 0 offen offset:1024
	buffer_load_dwordx4 v[74:77], v1, s[72:75], 0 offen offset:1024
	s_nop 0
	buffer_load_dword v0, off, s[88:91], 0 offset:56 ; 4-byte Folded Reload
	s_waitcnt vmcnt(0)
	v_add_u32_e32 v1, v231, v0
	buffer_load_dword v0, off, s[88:91], 0 offset:40 ; 4-byte Folded Reload
	s_waitcnt vmcnt(0)
	v_add_u32_e32 v0, v231, v0
	buffer_store_dword v1, off, s[88:91], 0 offset:420 ; 4-byte Folded Spill
	buffer_store_dword v0, off, s[88:91], 0 offset:416 ; 4-byte Folded Spill
	buffer_load_dwordx4 v[70:73], v1, s[72:75], 0 offen offset:1024
	buffer_load_dwordx4 v[66:69], v0, s[72:75], 0 offen offset:1024
	buffer_load_dword v248, off, s[88:91], 0 offset:376 ; 4-byte Folded Reload
	buffer_load_dword v229, off, s[88:91], 0 offset:372 ; 4-byte Folded Reload
	s_waitcnt vmcnt(1)
	v_add_u32_e32 v0, v231, v248
	s_waitcnt vmcnt(0)
	v_add_u32_e32 v1, v231, v229
	buffer_load_dwordx4 v[62:65], v0, s[76:79], 0 offen offset:1024
	buffer_load_dwordx4 v[58:61], v1, s[76:79], 0 offen offset:1024
	s_nop 0
	buffer_load_dword v0, off, s[88:91], 0 offset:24 ; 4-byte Folded Reload
	s_waitcnt vmcnt(0)
	v_add_u32_e32 v1, v231, v0
	buffer_load_dword v0, off, s[88:91], 0 offset:8 ; 4-byte Folded Reload
	s_waitcnt vmcnt(0)
	v_add_u32_e32 v0, v231, v0
	buffer_store_dword v1, off, s[88:91], 0 offset:428 ; 4-byte Folded Spill
	buffer_store_dword v0, off, s[88:91], 0 offset:424 ; 4-byte Folded Spill
	buffer_load_dwordx4 v[54:57], v1, s[76:79], 0 offen offset:1024
	buffer_load_dwordx4 v[50:53], v0, s[76:79], 0 offen offset:1024
	buffer_load_dword v228, off, s[88:91], 0 offset:368 ; 4-byte Folded Reload
	buffer_load_dword v219, off, s[88:91], 0 offset:364 ; 4-byte Folded Reload
	s_waitcnt vmcnt(1)
	v_add_u32_e32 v0, v231, v228
	s_waitcnt vmcnt(0)
	v_add_u32_e32 v1, v231, v219
	buffer_load_dwordx4 v[130:133], v0, s[76:79], 0 offen offset:1024
	buffer_load_dwordx4 v[134:137], v1, s[76:79], 0 offen offset:1024
	s_nop 0
	buffer_load_dword v0, off, s[88:91], 0 offset:4 ; 4-byte Folded Reload
	s_waitcnt vmcnt(0)
	v_add_u32_e32 v1, v231, v0
	buffer_load_dword v0, off, s[88:91], 0  ; 4-byte Folded Reload
	s_waitcnt vmcnt(0)
	v_add_u32_e32 v0, v231, v0
	buffer_store_dword v1, off, s[88:91], 0 offset:436 ; 4-byte Folded Spill
	buffer_store_dword v0, off, s[88:91], 0 offset:432 ; 4-byte Folded Spill
	buffer_load_dwordx4 v[138:141], v1, s[76:79], 0 offen offset:1024
	buffer_load_dwordx4 v[142:145], v0, s[76:79], 0 offen offset:1024
	v_add_u32_e32 v0, v231, v209
	v_add_u32_e32 v1, v231, v208
	buffer_store_dword v0, off, s[88:91], 0 offset:444 ; 4-byte Folded Spill
	buffer_store_dword v1, off, s[88:91], 0 offset:440 ; 4-byte Folded Spill
	buffer_load_dwordx4 v[206:209], v0, s[76:79], 0 offen offset:1024
	buffer_load_dwordx4 v[210:213], v1, s[76:79], 0 offen offset:1024
	buffer_load_dword v191, off, s[88:91], 0 offset:360 ; 4-byte Folded Reload
	buffer_load_dword v190, off, s[88:91], 0 offset:356 ; 4-byte Folded Reload
	s_waitcnt vmcnt(1)
	v_add_u32_e32 v0, v231, v191
	buffer_load_dwordx4 v[2:5], v0, s[76:79], 0 offen offset:1024
	s_waitcnt vmcnt(1)
	v_add_u32_e32 v1, v231, v190
	s_waitcnt vmcnt(0)
	buffer_store_dword v2, off, s[88:91], 0 offset:568 ; 4-byte Folded Spill
	s_nop 0
	buffer_store_dword v3, off, s[88:91], 0 offset:572 ; 4-byte Folded Spill
	buffer_store_dword v4, off, s[88:91], 0 offset:576 ; 4-byte Folded Spill
	buffer_store_dword v5, off, s[88:91], 0 offset:580 ; 4-byte Folded Spill
	buffer_load_dwordx4 v[0:3], v1, s[76:79], 0 offen offset:1024
	s_waitcnt vmcnt(0)
	buffer_store_dword v0, off, s[88:91], 0 offset:540 ; 4-byte Folded Spill
	s_nop 0
	buffer_store_dword v1, off, s[88:91], 0 offset:544 ; 4-byte Folded Spill
	buffer_store_dword v2, off, s[88:91], 0 offset:548 ; 4-byte Folded Spill
	;; [unrolled: 1-line block ×3, first 2 shown]
	buffer_load_dword v49, off, s[88:91], 0 offset:352 ; 4-byte Folded Reload
	buffer_load_dword v48, off, s[88:91], 0 offset:348 ; 4-byte Folded Reload
	s_waitcnt vmcnt(1)
	v_add_u32_e32 v0, v231, v49
	buffer_load_dwordx4 v[2:5], v0, s[76:79], 0 offen offset:1024
	s_waitcnt vmcnt(1)
	v_add_u32_e32 v1, v231, v48
	s_waitcnt vmcnt(0)
	buffer_store_dword v2, off, s[88:91], 0 offset:516 ; 4-byte Folded Spill
	s_nop 0
	buffer_store_dword v3, off, s[88:91], 0 offset:520 ; 4-byte Folded Spill
	buffer_store_dword v4, off, s[88:91], 0 offset:524 ; 4-byte Folded Spill
	;; [unrolled: 1-line block ×3, first 2 shown]
	buffer_load_dwordx4 v[0:3], v1, s[76:79], 0 offen offset:1024
	s_waitcnt vmcnt(0)
	buffer_store_dword v0, off, s[88:91], 0 offset:500 ; 4-byte Folded Spill
	s_nop 0
	buffer_store_dword v1, off, s[88:91], 0 offset:504 ; 4-byte Folded Spill
	buffer_store_dword v2, off, s[88:91], 0 offset:508 ; 4-byte Folded Spill
	;; [unrolled: 1-line block ×3, first 2 shown]
	v_add_u32_e32 v0, v231, v230
	buffer_store_dword v0, off, s[88:91], 0 offset:448 ; 4-byte Folded Spill
	buffer_load_dword v230, off, s[88:91], 0 offset:344 ; 4-byte Folded Reload
	buffer_load_dwordx4 v[2:5], v0, s[76:79], 0 offen offset:1024
	s_waitcnt vmcnt(0)
	buffer_store_dword v2, off, s[88:91], 0 offset:484 ; 4-byte Folded Spill
	s_nop 0
	buffer_store_dword v3, off, s[88:91], 0 offset:488 ; 4-byte Folded Spill
	buffer_store_dword v4, off, s[88:91], 0 offset:492 ; 4-byte Folded Spill
	;; [unrolled: 1-line block ×3, first 2 shown]
	v_add_u32_e32 v1, v231, v230
	buffer_load_dwordx4 v[0:3], v1, s[76:79], 0 offen offset:1024
	s_waitcnt vmcnt(0)
	buffer_store_dword v0, off, s[88:91], 0 offset:468 ; 4-byte Folded Spill
	s_nop 0
	buffer_store_dword v1, off, s[88:91], 0 offset:472 ; 4-byte Folded Spill
	buffer_store_dword v2, off, s[88:91], 0 offset:476 ; 4-byte Folded Spill
	;; [unrolled: 1-line block ×3, first 2 shown]
	s_waitcnt lgkmcnt(0)
	; wave barrier
	buffer_load_dword v0, off, s[88:91], 0 offset:148 ; 4-byte Folded Reload
	s_waitcnt vmcnt(0)
	ds_read_b128 v[198:201], v0
	ds_read_b128 v[232:235], v0 offset:16384
	buffer_load_dword v0, off, s[88:91], 0 offset:104 ; 4-byte Folded Reload
	s_waitcnt vmcnt(0)
	ds_read_b128 v[236:239], v0
	ds_read_b128 v[240:243], v0 offset:16384
	;; [unrolled: 4-line block ×3, first 2 shown]
	ds_read_b128 v[220:223], v247
	ds_read_b128 v[186:189], v247 offset:16384
	ds_read_b128 v[202:205], v245
	ds_read_b128 v[36:39], v245 offset:16384
	buffer_load_dword v0, off, s[88:91], 0 offset:112 ; 4-byte Folded Reload
	s_waitcnt vmcnt(0)
	ds_read_b128 v[182:185], v0
	ds_read_b128 v[178:181], v0 offset:16384
	ds_read_b128 v[166:169], v246
	ds_read_b128 v[162:165], v246 offset:16384
	;; [unrolled: 2-line block ×3, first 2 shown]
	buffer_load_dword v0, off, s[88:91], 0 offset:144 ; 4-byte Folded Reload
	s_waitcnt vmcnt(0)
	ds_read_b128 v[244:247], v0 offset:8192
	ds_read_b128 v[0:3], v0 offset:24576
	buffer_load_dword v4, off, s[88:91], 0 offset:140 ; 4-byte Folded Reload
	s_waitcnt vmcnt(0)
	ds_read_b128 v[8:11], v4 offset:8192
	ds_read_b128 v[4:7], v4 offset:24576
	;; [unrolled: 4-line block ×8, first 2 shown]
	; sched_barrier mask(0x00000000)
	; wave barrier
	; sched_barrier mask(0x00000000)
	s_waitcnt lgkmcnt(14)
	v_mfma_f32_16x16x16f16 v[224:227], v[198:199], v[232:233], v[224:227]
	v_mfma_f32_16x16x16f16 v[224:227], v[200:201], v[234:235], v[224:227]
	; sched_barrier mask(0x00000000)
	s_setprio 1
	; sched_barrier mask(0x00000000)
	v_mfma_f32_16x16x16f16 v[196:199], v[198:199], v[0:1], v[214:217]
	s_nop 6
	buffer_load_dword v214, off, s[88:91], 0 offset:296 ; 4-byte Folded Reload
	buffer_load_dword v215, off, s[88:91], 0 offset:300 ; 4-byte Folded Reload
	;; [unrolled: 1-line block ×4, first 2 shown]
	v_mfma_f32_16x16x16f16 v[196:199], v[200:201], v[2:3], v[196:199]
	v_mfma_f32_16x16x16f16 v[224:227], v[236:237], v[240:241], v[224:227]
	;; [unrolled: 1-line block ×3, first 2 shown]
	s_waitcnt lgkmcnt(12)
	v_mfma_f32_16x16x16f16 v[196:199], v[236:237], v[4:5], v[196:199]
	v_mfma_f32_16x16x16f16 v[196:199], v[238:239], v[6:7], v[196:199]
	s_waitcnt vmcnt(0)
	v_mfma_f32_16x16x16f16 v[214:217], v[244:245], v[232:233], v[214:217]
	v_mfma_f32_16x16x16f16 v[214:217], v[246:247], v[234:235], v[214:217]
	buffer_load_dword v232, off, s[88:91], 0 offset:312 ; 4-byte Folded Reload
	buffer_load_dword v233, off, s[88:91], 0 offset:316 ; 4-byte Folded Reload
	;; [unrolled: 1-line block ×4, first 2 shown]
	v_mfma_f32_16x16x16f16 v[214:217], v[8:9], v[240:241], v[214:217]
	v_mfma_f32_16x16x16f16 v[214:217], v[10:11], v[242:243], v[214:217]
	s_waitcnt vmcnt(0)
	v_mfma_f32_16x16x16f16 v[232:235], v[244:245], v[0:1], v[232:235]
	v_mfma_f32_16x16x16f16 v[0:3], v[246:247], v[2:3], v[232:235]
	s_nop 7
	s_nop 1
	buffer_load_dword v234, off, s[88:91], 0 offset:616 ; 4-byte Folded Reload
	buffer_load_dword v233, off, s[88:91], 0 offset:612 ; 4-byte Folded Reload
	v_mov_b32_e32 v235, v255
	v_mfma_f32_16x16x16f16 v[0:3], v[8:9], v[4:5], v[0:3]
	v_mfma_f32_16x16x16f16 v[0:3], v[10:11], v[6:7], v[0:3]
	v_mfma_f32_16x16x16f16 v[4:7], v[250:251], v[192:193], v[224:227]
	v_mfma_f32_16x16x16f16 v[4:7], v[252:253], v[194:195], v[4:7]
	s_waitcnt lgkmcnt(10)
	v_mfma_f32_16x16x16f16 v[8:11], v[250:251], v[12:13], v[196:199]
	v_mfma_f32_16x16x16f16 v[8:11], v[252:253], v[14:15], v[8:11]
	v_mfma_f32_16x16x16f16 v[4:7], v[220:221], v[186:187], v[4:7]
	v_mfma_f32_16x16x16f16 v[4:7], v[222:223], v[188:189], v[4:7]
	s_waitcnt lgkmcnt(8)
	;; [unrolled: 5-line block ×3, first 2 shown]
	v_mfma_f32_16x16x16f16 v[8:11], v[202:203], v[28:29], v[8:11]
	v_mfma_f32_16x16x16f16 v[0:3], v[16:17], v[12:13], v[0:3]
	v_mfma_f32_16x16x16f16 v[8:11], v[204:205], v[30:31], v[8:11]
	v_mfma_f32_16x16x16f16 v[4:7], v[182:183], v[178:179], v[4:7]
	v_mfma_f32_16x16x16f16 v[0:3], v[18:19], v[14:15], v[0:3]
	v_mfma_f32_16x16x16f16 v[4:7], v[184:185], v[180:181], v[4:7]
	s_waitcnt lgkmcnt(4)
	v_mfma_f32_16x16x16f16 v[8:11], v[182:183], v[40:41], v[8:11]
	v_mfma_f32_16x16x16f16 v[0:3], v[24:25], v[20:21], v[0:3]
	v_mfma_f32_16x16x16f16 v[8:11], v[184:185], v[42:43], v[8:11]
	v_mfma_f32_16x16x16f16 v[4:7], v[166:167], v[162:163], v[4:7]
	v_mfma_f32_16x16x16f16 v[0:3], v[26:27], v[22:23], v[0:3]
	v_mfma_f32_16x16x16f16 v[4:7], v[168:169], v[164:165], v[4:7]
	s_waitcnt lgkmcnt(2)
	v_mfma_f32_16x16x16f16 v[8:11], v[166:167], v[174:175], v[8:11]
	v_mfma_f32_16x16x16f16 v[0:3], v[32:33], v[28:29], v[0:3]
	v_mfma_f32_16x16x16f16 v[8:11], v[168:169], v[176:177], v[8:11]
	v_mfma_f32_16x16x16f16 v[4:7], v[150:151], v[146:147], v[4:7]
	v_mfma_f32_16x16x16f16 v[0:3], v[34:35], v[30:31], v[0:3]
	v_mfma_f32_16x16x16f16 v[28:31], v[152:153], v[148:149], v[4:7]
	s_waitcnt lgkmcnt(0)
	v_mfma_f32_16x16x16f16 v[4:7], v[150:151], v[158:159], v[8:11]
	v_mfma_f32_16x16x16f16 v[196:199], v[16:17], v[192:193], v[214:217]
	;; [unrolled: 1-line block ×3, first 2 shown]
	s_nop 7
	s_nop 2
	buffer_store_dword v4, off, s[88:91], 0 offset:312 ; 4-byte Folded Spill
	s_nop 0
	buffer_store_dword v5, off, s[88:91], 0 offset:316 ; 4-byte Folded Spill
	buffer_store_dword v6, off, s[88:91], 0 offset:320 ; 4-byte Folded Spill
	;; [unrolled: 1-line block ×3, first 2 shown]
	v_mfma_f32_16x16x16f16 v[192:195], v[18:19], v[194:195], v[196:199]
	buffer_load_dword v153, off, s[88:91], 0 offset:608 ; 4-byte Folded Reload
	buffer_load_dword v152, off, s[88:91], 0 offset:604 ; 4-byte Folded Reload
	v_mfma_f32_16x16x16f16 v[12:15], v[24:25], v[186:187], v[192:195]
	v_mfma_f32_16x16x16f16 v[12:15], v[26:27], v[188:189], v[12:15]
	;; [unrolled: 1-line block ×13, first 2 shown]
	s_nop 7
	s_nop 2
	buffer_store_dword v4, off, s[88:91], 0 offset:296 ; 4-byte Folded Spill
	s_nop 0
	buffer_store_dword v5, off, s[88:91], 0 offset:300 ; 4-byte Folded Spill
	buffer_store_dword v6, off, s[88:91], 0 offset:304 ; 4-byte Folded Spill
	;; [unrolled: 1-line block ×3, first 2 shown]
	v_mfma_f32_16x16x16f16 v[0:3], v[172:173], v[176:177], v[0:3]
	; sched_barrier mask(0x00000000)
	s_waitcnt lgkmcnt(0)
	; wave barrier
	; sched_barrier mask(0x00000000)
	v_mfma_f32_16x16x16f16 v[0:3], v[154:155], v[158:159], v[0:3]
	v_mfma_f32_16x16x16f16 v[0:3], v[156:157], v[160:161], v[0:3]
	s_nop 7
	s_nop 2
	buffer_store_dword v0, off, s[88:91], 0 offset:328 ; 4-byte Folded Spill
	s_nop 0
	buffer_store_dword v1, off, s[88:91], 0 offset:332 ; 4-byte Folded Spill
	buffer_store_dword v2, off, s[88:91], 0 offset:336 ; 4-byte Folded Spill
	;; [unrolled: 1-line block ×3, first 2 shown]
	; sched_barrier mask(0x00000000)
	s_setprio 0
	; sched_barrier mask(0x00000000)
	v_cndmask_b32_e64 v44, 0, v86, s[18:19]
	buffer_load_dword v86, off, s[88:91], 0 offset:464 ; 4-byte Folded Reload
	v_cndmask_b32_e64 v35, 0, v101, s[12:13]
	buffer_load_dword v101, off, s[88:91], 0 offset:600 ; 4-byte Folded Reload
	v_lshlrev_b32_e32 v146, 1, v218
	v_cndmask_b32_e64 v3, 0, v129, s[4:5]
	v_cndmask_b32_e64 v2, 0, v128, s[4:5]
	;; [unrolled: 1-line block ×4, first 2 shown]
	v_cndmask_b32_e32 v7, 0, v125, vcc
	v_cndmask_b32_e32 v6, 0, v124, vcc
	;; [unrolled: 1-line block ×4, first 2 shown]
	v_cndmask_b32_e64 v24, 0, v102, s[10:11]
	v_cndmask_b32_e64 v34, 0, v100, s[12:13]
	;; [unrolled: 1-line block ×54, first 2 shown]
	s_add_i32 s71, s71, 2
	s_cmp_lt_i32 s71, s87
	s_waitcnt vmcnt(1)
	v_add3_u32 v86, v86, s70, v146
	ds_write_b128 v86, v[0:3]
	s_waitcnt vmcnt(0)
	v_add_u32_e32 v0, v86, v101
	ds_write_b128 v0, v[4:7] offset:512
	buffer_load_dword v94, off, s[88:91], 0 offset:648 ; 4-byte Folded Reload
	buffer_load_dword v100, off, s[88:91], 0 offset:652 ; 4-byte Folded Reload
	;; [unrolled: 1-line block ×5, first 2 shown]
	v_cndmask_b32_e64 v3, 0, v65, s[38:39]
	v_cndmask_b32_e64 v2, 0, v64, s[38:39]
	;; [unrolled: 1-line block ×6, first 2 shown]
	v_mov_b32_e32 v253, v101
	s_waitcnt vmcnt(2)
	v_add3_u32 v1, v1, v100, v94
	s_waitcnt vmcnt(1)
	v_add3_u32 v0, v0, s70, v102
	ds_write_b128 v0, v[8:11] offset:512
	s_waitcnt vmcnt(0)
	v_add3_u32 v0, v0, s70, v95
	ds_write_b128 v0, v[12:15] offset:512
	buffer_load_dword v86, off, s[88:91], 0 offset:660 ; 4-byte Folded Reload
	buffer_load_dword v90, off, s[88:91], 0 offset:656 ; 4-byte Folded Reload
	;; [unrolled: 1-line block ×4, first 2 shown]
	v_cndmask_b32_e64 v11, 0, v57, s[34:35]
	v_cndmask_b32_e64 v10, 0, v56, s[34:35]
	;; [unrolled: 1-line block ×8, first 2 shown]
	v_mov_b32_e32 v251, v102
	v_mov_b32_e32 v252, v95
	s_waitcnt vmcnt(2)
	v_add3_u32 v1, v1, v90, v86
	s_waitcnt vmcnt(1)
	v_add3_u32 v0, v0, s70, v97
	ds_write_b128 v0, v[16:19] offset:512
	s_waitcnt vmcnt(0)
	v_add3_u32 v0, v0, s70, v96
	ds_write_b128 v0, v[20:23] offset:512
	v_add3_u32 v0, v0, s70, v233
	buffer_load_dword v87, off, s[88:91], 0 offset:668 ; 4-byte Folded Reload
	buffer_load_dword v91, off, s[88:91], 0 offset:664 ; 4-byte Folded Reload
	ds_write_b128 v0, v[24:27] offset:512
	v_add3_u32 v0, v0, s70, v234
	ds_write_b128 v0, v[32:35] offset:512
	buffer_load_dword v88, off, s[88:91], 0 offset:676 ; 4-byte Folded Reload
	buffer_load_dword v92, off, s[88:91], 0 offset:672 ; 4-byte Folded Reload
	;; [unrolled: 1-line block ×3, first 2 shown]
	v_add3_u32 v0, v0, s70, v235
	ds_write_b128 v0, v[36:39] offset:512
	v_cndmask_b32_e64 v39, 0, v209, s[48:49]
	v_cndmask_b32_e64 v38, 0, v208, s[48:49]
	;; [unrolled: 1-line block ×20, first 2 shown]
	v_mov_b32_e32 v250, v97
	v_mov_b32_e32 v232, v96
	s_waitcnt vmcnt(3)
	v_add3_u32 v1, v1, v91, v87
	s_waitcnt vmcnt(1)
	v_add3_u32 v1, v1, v92, v88
	;; [unrolled: 2-line block ×3, first 2 shown]
	ds_write_b128 v0, v[40:43] offset:512
	buffer_load_dword v89, off, s[88:91], 0 offset:624 ; 4-byte Folded Reload
	buffer_load_dword v93, off, s[88:91], 0 offset:620 ; 4-byte Folded Reload
	;; [unrolled: 1-line block ×3, first 2 shown]
	v_cndmask_b32_e64 v43, 0, v213, s[50:51]
	v_cndmask_b32_e64 v42, 0, v212, s[50:51]
	;; [unrolled: 1-line block ×4, first 2 shown]
	v_mov_b32_e32 v155, v98
	s_waitcnt vmcnt(1)
	v_add3_u32 v1, v1, v93, v89
	s_waitcnt vmcnt(0)
	v_add3_u32 v0, v0, s70, v99
	ds_write_b128 v0, v[44:47] offset:512
	v_add3_u32 v0, v0, s70, v152
	ds_write_b128 v0, v[82:85] offset:512
	v_add3_u32 v0, v0, s70, v153
	buffer_load_dword v82, off, s[88:91], 0 offset:628 ; 4-byte Folded Reload
	buffer_load_dword v83, off, s[88:91], 0 offset:680 ; 4-byte Folded Reload
	ds_write_b128 v0, v[78:81] offset:512
	buffer_load_dword v78, off, s[88:91], 0 offset:556 ; 4-byte Folded Reload
	v_mov_b32_e32 v151, v99
	s_waitcnt vmcnt(1)
	v_add3_u32 v1, v1, v83, v82
	s_waitcnt vmcnt(0)
	v_add3_u32 v0, v0, s70, v78
	ds_write_b128 v0, v[74:77] offset:512
	buffer_load_dword v74, off, s[88:91], 0 offset:688 ; 4-byte Folded Reload
	buffer_load_dword v75, off, s[88:91], 0 offset:684 ; 4-byte Folded Reload
	;; [unrolled: 1-line block ×5, first 2 shown]
	s_waitcnt vmcnt(3)
	v_add3_u32 v1, v1, v75, v74
	s_waitcnt vmcnt(2)
	v_add3_u32 v0, v0, s70, v76
	ds_write_b128 v0, v[70:73] offset:512
	buffer_load_dword v72, off, s[88:91], 0 offset:536 ; 4-byte Folded Reload
	buffer_load_dword v71, off, s[88:91], 0 offset:692 ; 4-byte Folded Reload
	s_waitcnt vmcnt(2)
	v_add_u32_e32 v208, 0x400, v208
	v_add_u32_e32 v209, 0x400, v209
	s_waitcnt vmcnt(1)
	v_add3_u32 v147, v0, s70, v72
	ds_write_b128 v147, v[66:69] offset:512
	s_waitcnt vmcnt(0)
	v_add3_u32 v149, v1, v71, v218
	v_cndmask_b32_e64 v1, 0, v63, s[38:39]
	v_cndmask_b32_e64 v0, 0, v62, s[38:39]
	buffer_load_dword v44, off, s[88:91], 0 offset:568 ; 4-byte Folded Reload
	buffer_load_dword v45, off, s[88:91], 0 offset:572 ; 4-byte Folded Reload
	;; [unrolled: 1-line block ×25, first 2 shown]
	v_mov_b32_e32 v154, v72
	s_waitcnt vmcnt(21)
	v_cndmask_b32_e64 v47, 0, v47, s[52:53]
	v_cndmask_b32_e64 v46, 0, v46, s[52:53]
	;; [unrolled: 1-line block ×4, first 2 shown]
	s_waitcnt vmcnt(17)
	v_cndmask_b32_e64 v53, 0, v53, s[54:55]
	v_cndmask_b32_e64 v52, 0, v52, s[54:55]
	s_waitcnt vmcnt(0)
	v_add3_u32 v70, v70, s70, v146
	ds_write_b128 v70, v[0:3]
	v_mov_b32_e32 v0, v101
	v_add_u32_e32 v0, v70, v0
	v_mov_b32_e32 v2, v102
	ds_write_b128 v0, v[4:7] offset:512
	v_add3_u32 v0, v0, s70, v2
	v_mov_b32_e32 v2, v95
	ds_write_b128 v0, v[8:11] offset:512
	v_add3_u32 v0, v0, s70, v2
	;; [unrolled: 3-line block ×4, first 2 shown]
	ds_write_b128 v0, v[20:23] offset:512
	v_add3_u32 v0, v0, s70, v233
	ds_write_b128 v0, v[24:27] offset:512
	v_add3_u32 v0, v0, s70, v234
	;; [unrolled: 2-line block ×3, first 2 shown]
	v_mov_b32_e32 v2, v98
	ds_write_b128 v0, v[36:39] offset:512
	v_add3_u32 v0, v0, s70, v2
	v_mov_b32_e32 v2, v99
	ds_write_b128 v0, v[40:43] offset:512
	v_add3_u32 v0, v0, s70, v2
	v_cndmask_b32_e64 v51, 0, v51, s[54:55]
	v_cndmask_b32_e64 v50, 0, v50, s[54:55]
	ds_write_b128 v0, v[44:47] offset:512
	v_add3_u32 v0, v0, s70, v152
	v_cndmask_b32_e64 v57, 0, v57, s[56:57]
	v_cndmask_b32_e64 v56, 0, v56, s[56:57]
	v_cndmask_b32_e64 v55, 0, v55, s[56:57]
	v_cndmask_b32_e64 v54, 0, v54, s[56:57]
	ds_write_b128 v0, v[50:53] offset:512
	v_add3_u32 v0, v0, s70, v153
	v_mov_b32_e32 v2, v78
	v_cndmask_b32_e64 v61, 0, v61, s[58:59]
	v_cndmask_b32_e64 v60, 0, v60, s[58:59]
	v_cndmask_b32_e64 v59, 0, v59, s[58:59]
	v_cndmask_b32_e64 v58, 0, v58, s[58:59]
	ds_write_b128 v0, v[54:57] offset:512
	v_add3_u32 v0, v0, s70, v2
	v_mov_b32_e32 v2, v76
	;; [unrolled: 7-line block ×3, first 2 shown]
	buffer_load_dword v1, off, s[88:91], 0 offset:452 ; 4-byte Folded Reload
	ds_write_b128 v0, v[62:65] offset:512
	v_add3_u32 v148, v0, s70, v2
	buffer_load_dword v0, off, s[88:91], 0 offset:152 ; 4-byte Folded Reload
	v_cndmask_b32_e64 v69, 0, v69, s[62:63]
	v_cndmask_b32_e64 v68, 0, v68, s[62:63]
	;; [unrolled: 1-line block ×4, first 2 shown]
	ds_write_b128 v148, v[66:69] offset:512
	v_mov_b32_e32 v46, v78
	v_mov_b32_e32 v47, v76
	s_waitcnt vmcnt(0)
	buffer_load_dwordx4 v[126:129], v0, s[72:75], 0 offen offset:1536
	s_nop 0
	buffer_load_dword v0, off, s[88:91], 0 offset:168 ; 4-byte Folded Reload
	v_add3_u32 v1, v1, v100, v94
	v_add3_u32 v1, v1, v90, v86
	;; [unrolled: 1-line block ×8, first 2 shown]
	s_waitcnt vmcnt(0)
	buffer_load_dwordx4 v[122:125], v0, s[72:75], 0 offen offset:1536
	s_nop 0
	buffer_load_dword v0, off, s[88:91], 0 offset:184 ; 4-byte Folded Reload
	s_waitcnt vmcnt(0)
	buffer_load_dwordx4 v[118:121], v0, s[72:75], 0 offen offset:1536
	s_nop 0
	buffer_load_dword v0, off, s[88:91], 0 offset:200 ; 4-byte Folded Reload
	;; [unrolled: 4-line block ×10, first 2 shown]
	s_waitcnt vmcnt(0)
	buffer_load_dwordx4 v[82:85], v0, s[72:75], 0 offen offset:1536
	v_add_u32_e32 v0, v231, v254
	buffer_load_dwordx4 v[78:81], v0, s[72:75], 0 offen offset:1536
	v_add_u32_e32 v0, v231, v249
	buffer_load_dwordx4 v[74:77], v0, s[72:75], 0 offen offset:1536
	s_nop 0
	buffer_load_dword v0, off, s[88:91], 0 offset:420 ; 4-byte Folded Reload
	v_add_u32_e32 v249, 0x400, v249
	v_add_u32_e32 v254, 0x400, v254
	s_waitcnt vmcnt(0)
	buffer_load_dwordx4 v[70:73], v0, s[72:75], 0 offen offset:1536
	s_nop 0
	buffer_load_dword v0, off, s[88:91], 0 offset:416 ; 4-byte Folded Reload
	s_waitcnt vmcnt(0)
	buffer_load_dwordx4 v[66:69], v0, s[72:75], 0 offen offset:1536
	v_add_u32_e32 v0, v231, v248
	buffer_load_dwordx4 v[62:65], v0, s[76:79], 0 offen offset:1536
	v_add_u32_e32 v0, v231, v229
	buffer_load_dwordx4 v[58:61], v0, s[76:79], 0 offen offset:1536
	s_nop 0
	buffer_load_dword v0, off, s[88:91], 0 offset:428 ; 4-byte Folded Reload
	v_add_u32_e32 v229, 0x400, v229
	v_add_u32_e32 v248, 0x400, v248
	s_waitcnt vmcnt(0)
	buffer_load_dwordx4 v[54:57], v0, s[76:79], 0 offen offset:1536
	s_nop 0
	buffer_load_dword v0, off, s[88:91], 0 offset:424 ; 4-byte Folded Reload
	;; [unrolled: 14-line block ×3, first 2 shown]
	s_waitcnt vmcnt(0)
	buffer_load_dwordx4 v[0:3], v0, s[76:79], 0 offen offset:1536
	s_waitcnt vmcnt(0)
	buffer_store_dword v0, off, s[88:91], 0 offset:280 ; 4-byte Folded Spill
	s_nop 0
	buffer_store_dword v1, off, s[88:91], 0 offset:284 ; 4-byte Folded Spill
	buffer_store_dword v2, off, s[88:91], 0 offset:288 ; 4-byte Folded Spill
	;; [unrolled: 1-line block ×3, first 2 shown]
	buffer_load_dword v0, off, s[88:91], 0 offset:444 ; 4-byte Folded Reload
	s_waitcnt vmcnt(0)
	buffer_load_dwordx4 v[0:3], v0, s[76:79], 0 offen offset:1536
	s_waitcnt vmcnt(0)
	buffer_store_dword v0, off, s[88:91], 0 offset:264 ; 4-byte Folded Spill
	s_nop 0
	buffer_store_dword v1, off, s[88:91], 0 offset:268 ; 4-byte Folded Spill
	buffer_store_dword v2, off, s[88:91], 0 offset:272 ; 4-byte Folded Spill
	;; [unrolled: 1-line block ×3, first 2 shown]
	buffer_load_dword v0, off, s[88:91], 0 offset:440 ; 4-byte Folded Reload
	s_waitcnt vmcnt(0)
	buffer_load_dwordx4 v[0:3], v0, s[76:79], 0 offen offset:1536
	s_waitcnt vmcnt(0)
	buffer_store_dword v0, off, s[88:91], 0 offset:248 ; 4-byte Folded Spill
	s_nop 0
	buffer_store_dword v1, off, s[88:91], 0 offset:252 ; 4-byte Folded Spill
	buffer_store_dword v2, off, s[88:91], 0 offset:256 ; 4-byte Folded Spill
	buffer_store_dword v3, off, s[88:91], 0 offset:260 ; 4-byte Folded Spill
	v_add_u32_e32 v0, v231, v191
	buffer_load_dwordx4 v[0:3], v0, s[76:79], 0 offen offset:1536
	v_add_u32_e32 v191, 0x400, v191
	s_waitcnt vmcnt(0)
	buffer_store_dword v0, off, s[88:91], 0 offset:232 ; 4-byte Folded Spill
	s_nop 0
	buffer_store_dword v1, off, s[88:91], 0 offset:236 ; 4-byte Folded Spill
	buffer_store_dword v2, off, s[88:91], 0 offset:240 ; 4-byte Folded Spill
	buffer_store_dword v3, off, s[88:91], 0 offset:244 ; 4-byte Folded Spill
	v_add_u32_e32 v0, v231, v190
	buffer_load_dwordx4 v[0:3], v0, s[76:79], 0 offen offset:1536
	v_add_u32_e32 v190, 0x400, v190
	;; [unrolled: 9-line block ×4, first 2 shown]
	s_waitcnt vmcnt(0)
	buffer_store_dword v0, off, s[88:91], 0 offset:184 ; 4-byte Folded Spill
	s_nop 0
	buffer_store_dword v1, off, s[88:91], 0 offset:188 ; 4-byte Folded Spill
	buffer_store_dword v2, off, s[88:91], 0 offset:192 ; 4-byte Folded Spill
	;; [unrolled: 1-line block ×3, first 2 shown]
	buffer_load_dword v0, off, s[88:91], 0 offset:448 ; 4-byte Folded Reload
	s_waitcnt vmcnt(0)
	buffer_load_dwordx4 v[0:3], v0, s[76:79], 0 offen offset:1536
	s_waitcnt vmcnt(0)
	buffer_store_dword v0, off, s[88:91], 0 offset:168 ; 4-byte Folded Spill
	s_nop 0
	buffer_store_dword v1, off, s[88:91], 0 offset:172 ; 4-byte Folded Spill
	buffer_store_dword v2, off, s[88:91], 0 offset:176 ; 4-byte Folded Spill
	;; [unrolled: 1-line block ×3, first 2 shown]
	v_add_u32_e32 v0, v231, v230
	buffer_load_dwordx4 v[0:3], v0, s[76:79], 0 offen offset:1536
	v_add_u32_e32 v230, 0x400, v230
	s_waitcnt vmcnt(0)
	buffer_store_dword v0, off, s[88:91], 0 offset:152 ; 4-byte Folded Spill
	s_nop 0
	buffer_store_dword v1, off, s[88:91], 0 offset:156 ; 4-byte Folded Spill
	buffer_store_dword v2, off, s[88:91], 0 offset:160 ; 4-byte Folded Spill
	;; [unrolled: 1-line block ×4, first 2 shown]
	buffer_load_dword v230, off, s[88:91], 0 offset:388 ; 4-byte Folded Reload
	s_nop 0
	buffer_load_dword v0, off, s[88:91], 0  ; 4-byte Folded Reload
	buffer_load_dword v203, off, s[88:91], 0 offset:400 ; 4-byte Folded Reload
	s_waitcnt vmcnt(2)
	v_add_u32_e32 v230, 0x400, v230
	buffer_store_dword v48, off, s[88:91], 0 offset:348 ; 4-byte Folded Spill
	s_waitcnt vmcnt(2)
	v_add_u32_e32 v0, 0x400, v0
	buffer_store_dword v0, off, s[88:91], 0 ; 4-byte Folded Spill
	buffer_load_dword v0, off, s[88:91], 0 offset:4 ; 4-byte Folded Reload
	s_waitcnt vmcnt(3)
	v_add_u32_e32 v203, 0x400, v203
	buffer_store_dword v49, off, s[88:91], 0 offset:352 ; 4-byte Folded Spill
	buffer_store_dword v190, off, s[88:91], 0 offset:356 ; 4-byte Folded Spill
	;; [unrolled: 1-line block ×9, first 2 shown]
	s_waitcnt vmcnt(9)
	v_add_u32_e32 v0, 0x400, v0
	buffer_store_dword v0, off, s[88:91], 0 offset:4 ; 4-byte Folded Spill
	buffer_load_dword v0, off, s[88:91], 0 offset:8 ; 4-byte Folded Reload
	s_waitcnt vmcnt(0)
	v_add_u32_e32 v0, 0x400, v0
	buffer_store_dword v0, off, s[88:91], 0 offset:8 ; 4-byte Folded Spill
	buffer_load_dword v0, off, s[88:91], 0 offset:24 ; 4-byte Folded Reload
	;; [unrolled: 4-line block ×15, first 2 shown]
	s_waitcnt vmcnt(0)
	v_add_u32_e32 v0, 0x400, v0
	buffer_store_dword v0, off, s[88:91], 0 offset:100 ; 4-byte Folded Spill
	s_cbranch_scc1 .LBB4_12
; %bb.13:
	buffer_load_dword v150, off, s[88:91], 0 offset:648 ; 4-byte Folded Reload
	buffer_load_dword v1, off, s[88:91], 0 offset:700 ; 4-byte Folded Reload
	;; [unrolled: 1-line block ×16, first 2 shown]
	s_lshl_b64 s[70:71], s[82:83], 1
	s_add_u32 s72, s80, s70
	s_mul_i32 s85, s85, s69
	s_mul_hi_u32 s67, s84, s69
	s_addc_u32 s73, s81, s71
	s_add_i32 s67, s67, s85
	s_waitcnt vmcnt(13)
	v_add3_u32 v0, v0, v1, v150
	s_waitcnt vmcnt(11)
	v_add3_u32 v0, v0, v231, v248
	;; [unrolled: 2-line block ×8, first 2 shown]
	v_add3_u32 v1, v1, v231, v248
	v_add3_u32 v1, v1, v249, v230
	;; [unrolled: 1-line block ×6, first 2 shown]
	buffer_load_dword v48, off, s[88:91], 0 offset:692 ; 4-byte Folded Reload
	buffer_load_dword v1, off, s[88:91], 0 offset:696 ; 4-byte Folded Reload
	;; [unrolled: 1-line block ×3, first 2 shown]
	v_mov_b32_e32 v254, v7
	s_waitcnt vmcnt(1)
	v_add3_u32 v0, v0, v48, v1
	s_waitcnt vmcnt(0)
	v_add3_u32 v0, v0, v49, v150
	v_add3_u32 v0, v0, v231, v248
	;; [unrolled: 1-line block ×7, first 2 shown]
	buffer_store_dword v0, off, s[88:91], 0 offset:4 ; 4-byte Folded Spill
	v_add3_u32 v0, v2, v48, v1
	v_add3_u32 v0, v0, v49, v150
	;; [unrolled: 1-line block ×8, first 2 shown]
	buffer_store_dword v0, off, s[88:91], 0 ; 4-byte Folded Spill
	s_waitcnt lgkmcnt(0)
	; wave barrier
	buffer_load_dword v149, off, s[88:91], 0 offset:148 ; 4-byte Folded Reload
	v_mov_b32_e32 v0, v6
	s_waitcnt vmcnt(0)
	ds_read_b128 v[2:5], v149
	ds_read_b128 v[6:9], v149 offset:16384
	buffer_load_dword v14, off, s[88:91], 0 offset:104 ; 4-byte Folded Reload
	s_waitcnt vmcnt(0)
	ds_read_b128 v[10:13], v14
	ds_read_b128 v[14:17], v14 offset:16384
	buffer_load_dword v22, off, s[88:91], 0 offset:108 ; 4-byte Folded Reload
	;; [unrolled: 4-line block ×7, first 2 shown]
	s_waitcnt vmcnt(0)
	ds_read_b128 v[158:161], v26
	s_waitcnt lgkmcnt(0)
	buffer_store_dword v158, off, s[88:91], 0 offset:24 ; 4-byte Folded Spill
	s_nop 0
	buffer_store_dword v159, off, s[88:91], 0 offset:28 ; 4-byte Folded Spill
	buffer_store_dword v160, off, s[88:91], 0 offset:32 ; 4-byte Folded Spill
	;; [unrolled: 1-line block ×3, first 2 shown]
	ds_read_b128 v[158:161], v26 offset:16384
	s_waitcnt lgkmcnt(0)
	buffer_store_dword v158, off, s[88:91], 0 offset:40 ; 4-byte Folded Spill
	s_nop 0
	buffer_store_dword v159, off, s[88:91], 0 offset:44 ; 4-byte Folded Spill
	buffer_store_dword v160, off, s[88:91], 0 offset:48 ; 4-byte Folded Spill
	;; [unrolled: 1-line block ×3, first 2 shown]
	buffer_load_dword v26, off, s[88:91], 0 offset:144 ; 4-byte Folded Reload
	s_waitcnt vmcnt(0)
	ds_read_b128 v[186:189], v26 offset:8192
	ds_read_b128 v[190:193], v26 offset:24576
	buffer_load_dword v26, off, s[88:91], 0 offset:140 ; 4-byte Folded Reload
	s_waitcnt vmcnt(0)
	ds_read_b128 v[194:197], v26 offset:8192
	ds_read_b128 v[202:205], v26 offset:24576
	buffer_load_dword v26, off, s[88:91], 0 offset:136 ; 4-byte Folded Reload
	s_waitcnt vmcnt(0)
	ds_read_b128 v[206:209], v26 offset:8192
	ds_read_b128 v[210:213], v26 offset:24576
	buffer_load_dword v26, off, s[88:91], 0 offset:132 ; 4-byte Folded Reload
	s_waitcnt vmcnt(0)
	ds_read_b128 v[214:217], v26 offset:8192
	ds_read_b128 v[218:221], v26 offset:24576
	buffer_load_dword v26, off, s[88:91], 0 offset:128 ; 4-byte Folded Reload
	s_waitcnt vmcnt(0)
	ds_read_b128 v[222:225], v26 offset:8192
	ds_read_b128 v[226:229], v26 offset:24576
	buffer_load_dword v26, off, s[88:91], 0 offset:124 ; 4-byte Folded Reload
	s_waitcnt vmcnt(0)
	ds_read_b128 v[198:201], v26 offset:8192
	ds_read_b128 v[236:239], v26 offset:24576
	buffer_load_dword v26, off, s[88:91], 0 offset:120 ; 4-byte Folded Reload
	s_waitcnt vmcnt(0)
	ds_read_b128 v[170:173], v26 offset:8192
	ds_read_b128 v[174:177], v26 offset:24576
	buffer_load_dword v26, off, s[88:91], 0 offset:116 ; 4-byte Folded Reload
	s_waitcnt vmcnt(0)
	ds_read_b128 v[158:161], v26 offset:8192
	s_waitcnt lgkmcnt(0)
	buffer_store_dword v158, off, s[88:91], 0 offset:8 ; 4-byte Folded Spill
	s_nop 0
	buffer_store_dword v159, off, s[88:91], 0 offset:12 ; 4-byte Folded Spill
	buffer_store_dword v160, off, s[88:91], 0 offset:16 ; 4-byte Folded Spill
	;; [unrolled: 1-line block ×3, first 2 shown]
	ds_read_b128 v[158:161], v26 offset:24576
	; sched_barrier mask(0x00000000)
	; wave barrier
	; sched_barrier mask(0x00000000)
	v_mfma_f32_16x16x16f16 v[240:243], v[2:3], v[6:7], v[28:31]
	v_mfma_f32_16x16x16f16 v[240:243], v[4:5], v[8:9], v[240:243]
	; sched_barrier mask(0x00000000)
	s_setprio 1
	; sched_barrier mask(0x00000000)
	buffer_load_dword v244, off, s[88:91], 0 offset:312 ; 4-byte Folded Reload
	buffer_load_dword v245, off, s[88:91], 0 offset:316 ; 4-byte Folded Reload
	;; [unrolled: 1-line block ×4, first 2 shown]
	v_mfma_f32_16x16x16f16 v[30:33], v[10:11], v[14:15], v[240:243]
	v_mfma_f32_16x16x16f16 v[30:33], v[12:13], v[16:17], v[30:33]
	s_waitcnt vmcnt(0)
	v_mfma_f32_16x16x16f16 v[244:247], v[2:3], v[190:191], v[244:247]
	v_mfma_f32_16x16x16f16 v[2:5], v[4:5], v[192:193], v[244:247]
	s_nop 7
	s_nop 1
	buffer_load_dword v244, off, s[88:91], 0 offset:296 ; 4-byte Folded Reload
	buffer_load_dword v245, off, s[88:91], 0 offset:300 ; 4-byte Folded Reload
	;; [unrolled: 1-line block ×8, first 2 shown]
	v_mfma_f32_16x16x16f16 v[2:5], v[10:11], v[202:203], v[2:5]
	v_mfma_f32_16x16x16f16 v[2:5], v[12:13], v[204:205], v[2:5]
	;; [unrolled: 1-line block ×9, first 2 shown]
	s_waitcnt vmcnt(4)
	v_mfma_f32_16x16x16f16 v[244:247], v[186:187], v[6:7], v[244:247]
	v_mfma_f32_16x16x16f16 v[6:9], v[188:189], v[8:9], v[244:247]
	;; [unrolled: 1-line block ×8, first 2 shown]
	buffer_load_dword v18, off, s[88:91], 0 offset:40 ; 4-byte Folded Reload
	buffer_load_dword v19, off, s[88:91], 0 offset:44 ; 4-byte Folded Reload
	;; [unrolled: 1-line block ×8, first 2 shown]
	v_mfma_f32_16x16x16f16 v[14:17], v[130:131], v[134:135], v[14:17]
	v_mfma_f32_16x16x16f16 v[14:17], v[132:133], v[136:137], v[14:17]
	;; [unrolled: 1-line block ×7, first 2 shown]
	s_waitcnt vmcnt(8)
	v_mfma_f32_16x16x16f16 v[26:29], v[186:187], v[190:191], v[26:29]
	v_mfma_f32_16x16x16f16 v[14:17], v[168:169], v[164:165], v[14:17]
	;; [unrolled: 1-line block ×3, first 2 shown]
	s_waitcnt vmcnt(2)
	v_mfma_f32_16x16x16f16 v[14:17], v[22:23], v[18:19], v[14:17]
	v_mfma_f32_16x16x16f16 v[10:13], v[194:195], v[202:203], v[26:29]
	s_waitcnt vmcnt(0)
	v_mfma_f32_16x16x16f16 v[138:141], v[24:25], v[20:21], v[14:17]
	s_nop 7
	buffer_load_dword v14, off, s[88:91], 0 offset:8 ; 4-byte Folded Reload
	buffer_load_dword v15, off, s[88:91], 0 offset:12 ; 4-byte Folded Reload
	;; [unrolled: 1-line block ×4, first 2 shown]
	v_mfma_f32_16x16x16f16 v[10:13], v[196:197], v[204:205], v[10:13]
	v_mfma_f32_16x16x16f16 v[10:13], v[206:207], v[210:211], v[10:13]
	;; [unrolled: 1-line block ×20, first 2 shown]
	s_waitcnt lgkmcnt(0)
	v_mfma_f32_16x16x16f16 v[2:5], v[22:23], v[158:159], v[2:5]
	v_mfma_f32_16x16x16f16 v[10:13], v[170:171], v[174:175], v[10:13]
	;; [unrolled: 1-line block ×3, first 2 shown]
	s_waitcnt vmcnt(2)
	v_mfma_f32_16x16x16f16 v[2:5], v[14:15], v[18:19], v[6:9]
	v_mfma_f32_16x16x16f16 v[10:13], v[172:173], v[176:177], v[10:13]
	s_waitcnt vmcnt(0)
	v_mfma_f32_16x16x16f16 v[134:137], v[16:17], v[20:21], v[2:5]
	; sched_barrier mask(0x00000000)
	s_waitcnt lgkmcnt(0)
	; wave barrier
	; sched_barrier mask(0x00000000)
	v_mfma_f32_16x16x16f16 v[2:5], v[14:15], v[158:159], v[10:13]
	v_mfma_f32_16x16x16f16 v[142:145], v[16:17], v[160:161], v[2:5]
	; sched_barrier mask(0x00000000)
	s_setprio 0
	; sched_barrier mask(0x00000000)
	s_nop 7
	s_nop 0
	v_cndmask_b32_e64 v5, 0, v129, s[4:5]
	v_cndmask_b32_e64 v4, 0, v128, s[4:5]
	;; [unrolled: 1-line block ×9, first 2 shown]
	v_add_u32_e32 v98, v147, v146
	s_movk_i32 s0, 0x200
	v_cndmask_b32_e32 v9, 0, v125, vcc
	v_cndmask_b32_e32 v8, 0, v124, vcc
	;; [unrolled: 1-line block ×4, first 2 shown]
	ds_write_b128 v98, v[2:5] offset:512
	v_add3_u32 v2, v98, s0, v253
	ds_write_b128 v2, v[6:9] offset:512
	v_add3_u32 v2, v2, s0, v251
	v_cndmask_b32_e64 v17, 0, v117, s[2:3]
	v_cndmask_b32_e64 v16, 0, v116, s[2:3]
	v_cndmask_b32_e64 v15, 0, v115, s[2:3]
	v_cndmask_b32_e64 v14, 0, v114, s[2:3]
	ds_write_b128 v2, v[10:13] offset:512
	v_add3_u32 v2, v2, s0, v252
	v_cndmask_b32_e64 v21, 0, v113, s[6:7]
	v_cndmask_b32_e64 v20, 0, v112, s[6:7]
	v_cndmask_b32_e64 v19, 0, v111, s[6:7]
	v_cndmask_b32_e64 v18, 0, v110, s[6:7]
	;; [unrolled: 6-line block ×4, first 2 shown]
	v_cndmask_b32_e64 v32, 0, v100, s[12:13]
	v_mov_b32_e32 v100, v1
	buffer_load_dword v1, off, s[88:91], 0 offset:4 ; 4-byte Folded Reload
	ds_write_b128 v2, v[22:25] offset:512
	v_add3_u32 v2, v2, s0, v233
	v_cndmask_b32_e64 v33, 0, v101, s[12:13]
	v_cndmask_b32_e64 v31, 0, v99, s[12:13]
	ds_write_b128 v2, v[26:29] offset:512
	v_add3_u32 v2, v2, s0, v234
	v_cndmask_b32_e64 v97, 0, v97, s[14:15]
	v_cndmask_b32_e64 v96, 0, v96, s[14:15]
	v_cndmask_b32_e64 v95, 0, v95, s[14:15]
	v_cndmask_b32_e64 v94, 0, v94, s[14:15]
	ds_write_b128 v2, v[30:33] offset:512
	v_add3_u32 v2, v2, s0, v235
	v_cndmask_b32_e64 v93, 0, v93, s[16:17]
	v_cndmask_b32_e64 v92, 0, v92, s[16:17]
	;; [unrolled: 6-line block ×4, first 2 shown]
	v_cndmask_b32_e64 v83, 0, v83, s[20:21]
	v_cndmask_b32_e64 v82, 0, v82, s[20:21]
	buffer_load_dword v90, off, s[88:91], 0 offset:624 ; 4-byte Folded Reload
	buffer_load_dword v91, off, s[88:91], 0 offset:620 ; 4-byte Folded Reload
	ds_write_b128 v2, v[86:89] offset:512
	v_add3_u32 v2, v2, s0, v152
	ds_write_b128 v2, v[82:85] offset:512
	buffer_load_dword v82, off, s[88:91], 0 offset:628 ; 4-byte Folded Reload
	v_mov_b32_e32 v101, v48
	v_mov_b32_e32 v99, v49
	v_cndmask_b32_e64 v81, 0, v81, s[22:23]
	v_cndmask_b32_e64 v80, 0, v80, s[22:23]
	;; [unrolled: 1-line block ×4, first 2 shown]
	v_mov_b32_e32 v98, v254
	v_add3_u32 v2, v2, s0, v153
	ds_write_b128 v2, v[78:81] offset:512
	v_mov_b32_e32 v78, v46
	v_cndmask_b32_e64 v77, 0, v77, s[24:25]
	v_cndmask_b32_e64 v76, 0, v76, s[24:25]
	;; [unrolled: 1-line block ×4, first 2 shown]
	v_add3_u32 v2, v2, s0, v78
	ds_write_b128 v2, v[74:77] offset:512
	v_mov_b32_e32 v75, v0
	v_mov_b32_e32 v74, v47
	v_cndmask_b32_e64 v73, 0, v73, s[26:27]
	v_cndmask_b32_e64 v72, 0, v72, s[26:27]
	;; [unrolled: 1-line block ×8, first 2 shown]
	v_add3_u32 v2, v2, s0, v74
	ds_write_b128 v2, v[70:73] offset:512
	v_cndmask_b32_e64 v5, 0, v65, s[38:39]
	v_cndmask_b32_e64 v4, 0, v64, s[38:39]
	;; [unrolled: 1-line block ×18, first 2 shown]
	s_waitcnt vmcnt(3)
	v_add3_u32 v1, v1, v101, v100
	v_add3_u32 v1, v1, v99, v150
	;; [unrolled: 1-line block ×5, first 2 shown]
	v_cndmask_b32_e64 v19, 0, v35, s[40:41]
	v_cndmask_b32_e64 v18, 0, v34, s[40:41]
	;; [unrolled: 1-line block ×10, first 2 shown]
	s_waitcnt vmcnt(1)
	v_add3_u32 v1, v1, v91, v90
	s_waitcnt vmcnt(0)
	v_add3_u32 v1, v1, v157, v82
	v_add3_u32 v1, v1, v75, v156
	v_lshl_add_u32 v1, v1, 1, v154
	ds_write_b128 v1, v[66:69] offset:1024
	buffer_load_dword v30, off, s[88:91], 0 offset:280 ; 4-byte Folded Reload
	buffer_load_dword v31, off, s[88:91], 0 offset:284 ; 4-byte Folded Reload
	;; [unrolled: 1-line block ×36, first 2 shown]
	buffer_load_dword v0, off, s[88:91], 0  ; 4-byte Folded Reload
	v_add_u32_e32 v1, v148, v146
	ds_write_b128 v1, v[2:5] offset:512
	v_add3_u32 v1, v1, s0, v253
	ds_write_b128 v1, v[6:9] offset:512
	v_add3_u32 v1, v1, s0, v251
	;; [unrolled: 2-line block ×7, first 2 shown]
	s_waitcnt vmcnt(33)
	v_cndmask_b32_e64 v33, 0, v33, s[46:47]
	v_cndmask_b32_e64 v32, 0, v32, s[46:47]
	;; [unrolled: 1-line block ×4, first 2 shown]
	s_waitcnt vmcnt(29)
	v_cndmask_b32_e64 v37, 0, v37, s[48:49]
	v_cndmask_b32_e64 v36, 0, v36, s[48:49]
	;; [unrolled: 1-line block ×4, first 2 shown]
	ds_write_b128 v1, v[30:33] offset:512
	s_waitcnt vmcnt(0)
	v_add3_u32 v0, v0, v101, v100
	v_add3_u32 v0, v0, v99, v150
	;; [unrolled: 1-line block ×4, first 2 shown]
	v_cndmask_b32_e64 v41, 0, v41, s[50:51]
	v_cndmask_b32_e64 v40, 0, v40, s[50:51]
	v_cndmask_b32_e64 v39, 0, v39, s[50:51]
	v_cndmask_b32_e64 v38, 0, v38, s[50:51]
	v_add3_u32 v0, v0, v249, v230
	ds_write_b128 v1, v[34:37] offset:512
	v_add3_u32 v1, v1, s0, v155
	v_cndmask_b32_e64 v45, 0, v45, s[52:53]
	v_cndmask_b32_e64 v44, 0, v44, s[52:53]
	v_cndmask_b32_e64 v43, 0, v43, s[52:53]
	v_cndmask_b32_e64 v42, 0, v42, s[52:53]
	v_add3_u32 v0, v0, v98, v255
	ds_write_b128 v1, v[38:41] offset:512
	v_add3_u32 v1, v1, s0, v151
	;; [unrolled: 7-line block ×3, first 2 shown]
	v_cndmask_b32_e64 v53, 0, v53, s[56:57]
	v_cndmask_b32_e64 v52, 0, v52, s[56:57]
	v_cndmask_b32_e64 v51, 0, v51, s[56:57]
	v_cndmask_b32_e64 v50, 0, v50, s[56:57]
	ds_write_b128 v1, v[46:49] offset:512
	v_add3_u32 v0, v0, v157, v82
	v_add3_u32 v1, v1, s0, v153
	v_cndmask_b32_e64 v57, 0, v57, s[58:59]
	v_cndmask_b32_e64 v56, 0, v56, s[58:59]
	;; [unrolled: 1-line block ×4, first 2 shown]
	ds_write_b128 v1, v[50:53] offset:512
	v_add3_u32 v1, v1, s0, v78
	v_add3_u32 v0, v0, v75, v156
	v_cndmask_b32_e64 v61, 0, v61, s[60:61]
	v_cndmask_b32_e64 v60, 0, v60, s[60:61]
	;; [unrolled: 1-line block ×8, first 2 shown]
	ds_write_b128 v1, v[54:57] offset:512
	v_add3_u32 v1, v1, s0, v74
	v_lshl_add_u32 v0, v0, 1, v154
	ds_write_b128 v1, v[58:61] offset:512
	ds_write_b128 v0, v[62:65] offset:17408
	s_waitcnt lgkmcnt(0)
	; wave barrier
	ds_read_b128 v[42:45], v149
	ds_read_b128 v[46:49], v149 offset:16384
	buffer_load_dword v0, off, s[88:91], 0 offset:104 ; 4-byte Folded Reload
	s_waitcnt vmcnt(0)
	ds_read_b128 v[50:53], v0
	ds_read_b128 v[54:57], v0 offset:16384
	buffer_load_dword v0, off, s[88:91], 0 offset:108 ; 4-byte Folded Reload
	s_waitcnt vmcnt(0)
	;; [unrolled: 4-line block ×8, first 2 shown]
	ds_read_b128 v[82:85], v0 offset:8192
	ds_read_b128 v[86:89], v0 offset:24576
	buffer_load_dword v0, off, s[88:91], 0 offset:140 ; 4-byte Folded Reload
	s_waitcnt vmcnt(0)
	ds_read_b128 v[90:93], v0 offset:8192
	ds_read_b128 v[94:97], v0 offset:24576
	buffer_load_dword v0, off, s[88:91], 0 offset:136 ; 4-byte Folded Reload
	s_waitcnt vmcnt(0)
	;; [unrolled: 4-line block ×7, first 2 shown]
	ds_read_b128 v[10:13], v0 offset:8192
	ds_read_b128 v[14:17], v0 offset:24576
	; sched_barrier mask(0x00000000)
	; wave barrier
	; sched_barrier mask(0x00000000)
	s_waitcnt lgkmcnt(14)
	v_mfma_f32_16x16x16f16 v[138:141], v[42:43], v[46:47], v[138:141]
	v_mfma_f32_16x16x16f16 v[138:141], v[44:45], v[48:49], v[138:141]
	; sched_barrier mask(0x00000000)
	s_setprio 1
	; sched_barrier mask(0x00000000)
	v_mfma_f32_16x16x16f16 v[130:133], v[42:43], v[86:87], v[130:133]
	v_mfma_f32_16x16x16f16 v[42:45], v[44:45], v[88:89], v[130:133]
	;; [unrolled: 1-line block ×7, first 2 shown]
	s_waitcnt lgkmcnt(12)
	v_mfma_f32_16x16x16f16 v[42:45], v[50:51], v[94:95], v[42:45]
	v_mfma_f32_16x16x16f16 v[86:89], v[52:53], v[56:57], v[86:89]
	v_mfma_f32_16x16x16f16 v[42:45], v[52:53], v[96:97], v[42:45]
	v_mfma_f32_16x16x16f16 v[46:49], v[90:91], v[54:55], v[46:49]
	v_mfma_f32_16x16x16f16 v[46:49], v[92:93], v[56:57], v[46:49]
	v_mfma_f32_16x16x16f16 v[50:53], v[90:91], v[94:95], v[82:85]
	v_mfma_f32_16x16x16f16 v[54:57], v[58:59], v[62:63], v[86:89]
	s_waitcnt lgkmcnt(10)
	v_mfma_f32_16x16x16f16 v[42:45], v[58:59], v[102:103], v[42:45]
	v_mfma_f32_16x16x16f16 v[50:53], v[92:93], v[96:97], v[50:53]
	v_mfma_f32_16x16x16f16 v[54:57], v[60:61], v[64:65], v[54:57]
	v_mfma_f32_16x16x16f16 v[42:45], v[60:61], v[104:105], v[42:45]
	v_mfma_f32_16x16x16f16 v[46:49], v[98:99], v[62:63], v[46:49]
	v_mfma_f32_16x16x16f16 v[46:49], v[100:101], v[64:65], v[46:49]
	v_mfma_f32_16x16x16f16 v[50:53], v[98:99], v[102:103], v[50:53]
	v_mfma_f32_16x16x16f16 v[54:57], v[66:67], v[70:71], v[54:57]
	s_waitcnt lgkmcnt(8)
	v_mfma_f32_16x16x16f16 v[42:45], v[66:67], v[110:111], v[42:45]
	;; [unrolled: 9-line block ×4, first 2 shown]
	v_mfma_f32_16x16x16f16 v[50:53], v[116:117], v[120:121], v[50:53]
	v_mfma_f32_16x16x16f16 v[54:57], v[40:41], v[36:37], v[54:57]
	;; [unrolled: 1-line block ×8, first 2 shown]
	s_waitcnt lgkmcnt(2)
	v_mfma_f32_16x16x16f16 v[38:41], v[22:23], v[30:31], v[38:41]
	v_mfma_f32_16x16x16f16 v[34:37], v[26:27], v[18:19], v[34:37]
	;; [unrolled: 1-line block ×8, first 2 shown]
	s_waitcnt lgkmcnt(0)
	v_mfma_f32_16x16x16f16 v[22:25], v[6:7], v[14:15], v[22:25]
	v_mfma_f32_16x16x16f16 v[0:3], v[10:11], v[2:3], v[18:21]
	;; [unrolled: 1-line block ×5, first 2 shown]
	; sched_barrier mask(0x00000000)
	s_waitcnt lgkmcnt(0)
	; wave barrier
	; sched_barrier mask(0x00000000)
	v_mfma_f32_16x16x16f16 v[18:21], v[10:11], v[14:15], v[26:29]
	v_mfma_f32_16x16x16f16 v[10:13], v[12:13], v[16:17], v[18:21]
	; sched_barrier mask(0x00000000)
	s_setprio 0
	; sched_barrier mask(0x00000000)
	buffer_load_dword v4, off, s[88:91], 0 offset:768 ; 4-byte Folded Reload
	buffer_load_dword v5, off, s[88:91], 0 offset:776 ; 4-byte Folded Reload
	s_nop 6
	v_cvt_f16_f32_e32 v20, v32
	v_cvt_f16_f32_e32 v21, v33
	s_add_i32 s2, s65, s67
	s_lshl_b32 s74, s2, 1
	s_mov_b32 s75, 0x20000
	v_cvt_f16_f32_e32 v0, v0
	s_lshl_b32 s4, s69, 4
	v_cvt_f16_f32_e32 v1, v1
	v_cvt_f16_f32_e32 v2, v2
	;; [unrolled: 1-line block ×3, first 2 shown]
	s_waitcnt vmcnt(1)
	v_lshrrev_b32_e32 v16, 2, v4
	s_waitcnt vmcnt(0)
	v_and_or_b32 v5, v4, 15, v5
	buffer_load_dword v4, off, s[88:91], 0 offset:772 ; 4-byte Folded Reload
	v_lshl_or_b32 v18, s33, 5, v16
	v_lshlrev_b32_e32 v19, 1, v5
	s_waitcnt lgkmcnt(0)
	; wave barrier
	s_waitcnt vmcnt(0)
	v_and_b32_e32 v17, 12, v4
	v_or_b32_e32 v4, s66, v17
	v_mad_u64_u32 v[14:15], s[0:1], v18, s69, v[4:5]
	v_cvt_f16_f32_e32 v15, v30
	v_cvt_f16_f32_e32 v5, v31
	ds_write_b16 v19, v15
	ds_write_b16 v19, v5 offset:32
	ds_write_b16 v19, v20 offset:64
	;; [unrolled: 1-line block ×3, first 2 shown]
	v_lshlrev_b32_e32 v5, 1, v17
	v_lshl_or_b32 v15, v16, 5, v5
	s_waitcnt lgkmcnt(0)
	; wave barrier
	ds_read_b64 v[16:17], v15
	v_cmp_gt_i32_e32 vcc, s65, v4
	v_cmp_gt_i32_e64 s[0:1], s64, v18
	v_bfrev_b32_e32 v20, 1
	s_and_b64 s[2:3], s[0:1], vcc
	v_cndmask_b32_e64 v5, v20, 0, s[2:3]
	v_lshl_add_u32 v5, v14, 1, v5
	s_waitcnt lgkmcnt(0)
	buffer_store_dwordx2 v[16:17], v5, s[72:75], 0 offen
	v_or_b32_e32 v16, 16, v4
	v_cvt_f16_f32_e32 v4, v6
	v_cvt_f16_f32_e32 v5, v7
	;; [unrolled: 1-line block ×4, first 2 shown]
	s_waitcnt lgkmcnt(0)
	; wave barrier
	ds_write_b16 v19, v4
	ds_write_b16 v19, v5 offset:32
	ds_write_b16 v19, v6 offset:64
	;; [unrolled: 1-line block ×3, first 2 shown]
	s_waitcnt lgkmcnt(0)
	; wave barrier
	ds_read_b64 v[4:5], v15
	v_cmp_gt_i32_e64 s[2:3], s65, v16
	s_and_b64 s[0:1], s[0:1], s[2:3]
	v_add_u32_e32 v17, 16, v14
	v_cndmask_b32_e64 v6, v20, 0, s[0:1]
	v_lshl_add_u32 v6, v17, 1, v6
	s_waitcnt lgkmcnt(0)
	buffer_store_dwordx2 v[4:5], v6, s[72:75], 0 offen
	v_cvt_f16_f32_e32 v4, v10
	v_cvt_f16_f32_e32 v5, v11
	;; [unrolled: 1-line block ×4, first 2 shown]
	v_or_b32_e32 v6, 16, v18
	s_waitcnt lgkmcnt(0)
	; wave barrier
	ds_write_b16 v19, v4
	ds_write_b16 v19, v5 offset:32
	ds_write_b16 v19, v8 offset:64
	;; [unrolled: 1-line block ×3, first 2 shown]
	s_waitcnt lgkmcnt(0)
	; wave barrier
	ds_read_b64 v[4:5], v15
	v_cmp_gt_i32_e64 s[0:1], s64, v6
	s_and_b64 s[2:3], s[0:1], s[2:3]
	v_add_u32_e32 v7, s4, v17
	v_cndmask_b32_e64 v6, v20, 0, s[2:3]
	v_lshl_add_u32 v6, v7, 1, v6
	s_waitcnt lgkmcnt(0)
	buffer_store_dwordx2 v[4:5], v6, s[72:75], 0 offen
	s_waitcnt lgkmcnt(0)
	; wave barrier
	ds_write_b16 v19, v0
	ds_write_b16 v19, v1 offset:32
	ds_write_b16 v19, v2 offset:64
	;; [unrolled: 1-line block ×3, first 2 shown]
	s_waitcnt lgkmcnt(0)
	; wave barrier
	ds_read_b64 v[0:1], v15
	s_and_b64 s[0:1], vcc, s[0:1]
	v_add_u32_e32 v2, s4, v14
	v_cndmask_b32_e64 v3, v20, 0, s[0:1]
	v_lshl_add_u32 v2, v2, 1, v3
	s_waitcnt lgkmcnt(0)
	buffer_store_dwordx2 v[0:1], v2, s[72:75], 0 offen
	s_endpgm
	.section	.rodata,"a",@progbits
	.p2align	6, 0x0
	.amdhsa_kernel _ZN2ck27kernel_gemm_xdl_cshuffle_v3INS_28GridwiseGemm_xdl_cshuffle_v3INS_13tensor_layout4gemm8RowMajorENS3_11ColumnMajorES4_DF16_DF16_fDF16_DF16_NS_16tensor_operation12element_wise11PassThroughES8_S8_LNS6_6device18GemmSpecializationE4ELi64ELi32ELi32ELi256ELi8ELi8ELi16ELi16ELi2ELi2ENS_8SequenceIJLi32ELi2ELi1EEEENSB_IJLi1ELi0ELi2EEEESD_Li2ELi8ELi8ELb0ELi0ESC_SD_SD_Li2ELi8ELi8ELb0ELi0ELi1ELi1ENSB_IJLi1ELi16ELi1ELi4EEEELi4ELNS_26BlockGemmPipelineSchedulerE1ELNS_24BlockGemmPipelineVersionE1EDF16_DF16_Lb0ELb0ELb0ELi0ELb0EEELb1ELNS_25InMemoryDataOperationEnumE0ELi2ELNS_10TailNumberE10EEEvNT_8ArgumentE
		.amdhsa_group_segment_fixed_size 32768
		.amdhsa_private_segment_fixed_size 784
		.amdhsa_kernarg_size 112
		.amdhsa_user_sgpr_count 6
		.amdhsa_user_sgpr_private_segment_buffer 1
		.amdhsa_user_sgpr_dispatch_ptr 0
		.amdhsa_user_sgpr_queue_ptr 0
		.amdhsa_user_sgpr_kernarg_segment_ptr 1
		.amdhsa_user_sgpr_dispatch_id 0
		.amdhsa_user_sgpr_flat_scratch_init 0
		.amdhsa_user_sgpr_kernarg_preload_length 0
		.amdhsa_user_sgpr_kernarg_preload_offset 0
		.amdhsa_user_sgpr_private_segment_size 0
		.amdhsa_uses_dynamic_stack 0
		.amdhsa_system_sgpr_private_segment_wavefront_offset 1
		.amdhsa_system_sgpr_workgroup_id_x 1
		.amdhsa_system_sgpr_workgroup_id_y 0
		.amdhsa_system_sgpr_workgroup_id_z 1
		.amdhsa_system_sgpr_workgroup_info 0
		.amdhsa_system_vgpr_workitem_id 0
		.amdhsa_next_free_vgpr 256
		.amdhsa_next_free_sgpr 92
		.amdhsa_accum_offset 256
		.amdhsa_reserve_vcc 1
		.amdhsa_reserve_flat_scratch 0
		.amdhsa_float_round_mode_32 0
		.amdhsa_float_round_mode_16_64 0
		.amdhsa_float_denorm_mode_32 3
		.amdhsa_float_denorm_mode_16_64 3
		.amdhsa_dx10_clamp 1
		.amdhsa_ieee_mode 1
		.amdhsa_fp16_overflow 0
		.amdhsa_tg_split 0
		.amdhsa_exception_fp_ieee_invalid_op 0
		.amdhsa_exception_fp_denorm_src 0
		.amdhsa_exception_fp_ieee_div_zero 0
		.amdhsa_exception_fp_ieee_overflow 0
		.amdhsa_exception_fp_ieee_underflow 0
		.amdhsa_exception_fp_ieee_inexact 0
		.amdhsa_exception_int_div_zero 0
	.end_amdhsa_kernel
	.section	.text._ZN2ck27kernel_gemm_xdl_cshuffle_v3INS_28GridwiseGemm_xdl_cshuffle_v3INS_13tensor_layout4gemm8RowMajorENS3_11ColumnMajorES4_DF16_DF16_fDF16_DF16_NS_16tensor_operation12element_wise11PassThroughES8_S8_LNS6_6device18GemmSpecializationE4ELi64ELi32ELi32ELi256ELi8ELi8ELi16ELi16ELi2ELi2ENS_8SequenceIJLi32ELi2ELi1EEEENSB_IJLi1ELi0ELi2EEEESD_Li2ELi8ELi8ELb0ELi0ESC_SD_SD_Li2ELi8ELi8ELb0ELi0ELi1ELi1ENSB_IJLi1ELi16ELi1ELi4EEEELi4ELNS_26BlockGemmPipelineSchedulerE1ELNS_24BlockGemmPipelineVersionE1EDF16_DF16_Lb0ELb0ELb0ELi0ELb0EEELb1ELNS_25InMemoryDataOperationEnumE0ELi2ELNS_10TailNumberE10EEEvNT_8ArgumentE,"axG",@progbits,_ZN2ck27kernel_gemm_xdl_cshuffle_v3INS_28GridwiseGemm_xdl_cshuffle_v3INS_13tensor_layout4gemm8RowMajorENS3_11ColumnMajorES4_DF16_DF16_fDF16_DF16_NS_16tensor_operation12element_wise11PassThroughES8_S8_LNS6_6device18GemmSpecializationE4ELi64ELi32ELi32ELi256ELi8ELi8ELi16ELi16ELi2ELi2ENS_8SequenceIJLi32ELi2ELi1EEEENSB_IJLi1ELi0ELi2EEEESD_Li2ELi8ELi8ELb0ELi0ESC_SD_SD_Li2ELi8ELi8ELb0ELi0ELi1ELi1ENSB_IJLi1ELi16ELi1ELi4EEEELi4ELNS_26BlockGemmPipelineSchedulerE1ELNS_24BlockGemmPipelineVersionE1EDF16_DF16_Lb0ELb0ELb0ELi0ELb0EEELb1ELNS_25InMemoryDataOperationEnumE0ELi2ELNS_10TailNumberE10EEEvNT_8ArgumentE,comdat
.Lfunc_end4:
	.size	_ZN2ck27kernel_gemm_xdl_cshuffle_v3INS_28GridwiseGemm_xdl_cshuffle_v3INS_13tensor_layout4gemm8RowMajorENS3_11ColumnMajorES4_DF16_DF16_fDF16_DF16_NS_16tensor_operation12element_wise11PassThroughES8_S8_LNS6_6device18GemmSpecializationE4ELi64ELi32ELi32ELi256ELi8ELi8ELi16ELi16ELi2ELi2ENS_8SequenceIJLi32ELi2ELi1EEEENSB_IJLi1ELi0ELi2EEEESD_Li2ELi8ELi8ELb0ELi0ESC_SD_SD_Li2ELi8ELi8ELb0ELi0ELi1ELi1ENSB_IJLi1ELi16ELi1ELi4EEEELi4ELNS_26BlockGemmPipelineSchedulerE1ELNS_24BlockGemmPipelineVersionE1EDF16_DF16_Lb0ELb0ELb0ELi0ELb0EEELb1ELNS_25InMemoryDataOperationEnumE0ELi2ELNS_10TailNumberE10EEEvNT_8ArgumentE, .Lfunc_end4-_ZN2ck27kernel_gemm_xdl_cshuffle_v3INS_28GridwiseGemm_xdl_cshuffle_v3INS_13tensor_layout4gemm8RowMajorENS3_11ColumnMajorES4_DF16_DF16_fDF16_DF16_NS_16tensor_operation12element_wise11PassThroughES8_S8_LNS6_6device18GemmSpecializationE4ELi64ELi32ELi32ELi256ELi8ELi8ELi16ELi16ELi2ELi2ENS_8SequenceIJLi32ELi2ELi1EEEENSB_IJLi1ELi0ELi2EEEESD_Li2ELi8ELi8ELb0ELi0ESC_SD_SD_Li2ELi8ELi8ELb0ELi0ELi1ELi1ENSB_IJLi1ELi16ELi1ELi4EEEELi4ELNS_26BlockGemmPipelineSchedulerE1ELNS_24BlockGemmPipelineVersionE1EDF16_DF16_Lb0ELb0ELb0ELi0ELb0EEELb1ELNS_25InMemoryDataOperationEnumE0ELi2ELNS_10TailNumberE10EEEvNT_8ArgumentE
                                        ; -- End function
	.section	.AMDGPU.csdata,"",@progbits
; Kernel info:
; codeLenInByte = 21828
; NumSgprs: 96
; NumVgprs: 256
; NumAgprs: 0
; TotalNumVgprs: 256
; ScratchSize: 784
; MemoryBound: 0
; FloatMode: 240
; IeeeMode: 1
; LDSByteSize: 32768 bytes/workgroup (compile time only)
; SGPRBlocks: 11
; VGPRBlocks: 31
; NumSGPRsForWavesPerEU: 96
; NumVGPRsForWavesPerEU: 256
; AccumOffset: 256
; Occupancy: 1
; WaveLimiterHint : 0
; COMPUTE_PGM_RSRC2:SCRATCH_EN: 1
; COMPUTE_PGM_RSRC2:USER_SGPR: 6
; COMPUTE_PGM_RSRC2:TRAP_HANDLER: 0
; COMPUTE_PGM_RSRC2:TGID_X_EN: 1
; COMPUTE_PGM_RSRC2:TGID_Y_EN: 0
; COMPUTE_PGM_RSRC2:TGID_Z_EN: 1
; COMPUTE_PGM_RSRC2:TIDIG_COMP_CNT: 0
; COMPUTE_PGM_RSRC3_GFX90A:ACCUM_OFFSET: 63
; COMPUTE_PGM_RSRC3_GFX90A:TG_SPLIT: 0
	.section	.text._ZN2ck27kernel_gemm_xdl_cshuffle_v3INS_28GridwiseGemm_xdl_cshuffle_v3INS_13tensor_layout4gemm8RowMajorENS3_11ColumnMajorES4_DF16_DF16_fDF16_DF16_NS_16tensor_operation12element_wise11PassThroughES8_S8_LNS6_6device18GemmSpecializationE4ELi64ELi32ELi32ELi256ELi8ELi8ELi16ELi16ELi2ELi1ENS_8SequenceIJLi32ELi2ELi1EEEENSB_IJLi1ELi0ELi2EEEESD_Li2ELi8ELi8ELb0ELi0ESC_SD_SD_Li2ELi8ELi8ELb0ELi0ELi1ELi1ENSB_IJLi1ELi16ELi1ELi4EEEELi4ELNS_26BlockGemmPipelineSchedulerE1ELNS_24BlockGemmPipelineVersionE1EDF16_DF16_Lb0ELb0ELb0ELi0ELb0EEELb1ELNS_25InMemoryDataOperationEnumE1ELi2ELNS_10TailNumberE2EEEvNT_8ArgumentE,"axG",@progbits,_ZN2ck27kernel_gemm_xdl_cshuffle_v3INS_28GridwiseGemm_xdl_cshuffle_v3INS_13tensor_layout4gemm8RowMajorENS3_11ColumnMajorES4_DF16_DF16_fDF16_DF16_NS_16tensor_operation12element_wise11PassThroughES8_S8_LNS6_6device18GemmSpecializationE4ELi64ELi32ELi32ELi256ELi8ELi8ELi16ELi16ELi2ELi1ENS_8SequenceIJLi32ELi2ELi1EEEENSB_IJLi1ELi0ELi2EEEESD_Li2ELi8ELi8ELb0ELi0ESC_SD_SD_Li2ELi8ELi8ELb0ELi0ELi1ELi1ENSB_IJLi1ELi16ELi1ELi4EEEELi4ELNS_26BlockGemmPipelineSchedulerE1ELNS_24BlockGemmPipelineVersionE1EDF16_DF16_Lb0ELb0ELb0ELi0ELb0EEELb1ELNS_25InMemoryDataOperationEnumE1ELi2ELNS_10TailNumberE2EEEvNT_8ArgumentE,comdat
	.protected	_ZN2ck27kernel_gemm_xdl_cshuffle_v3INS_28GridwiseGemm_xdl_cshuffle_v3INS_13tensor_layout4gemm8RowMajorENS3_11ColumnMajorES4_DF16_DF16_fDF16_DF16_NS_16tensor_operation12element_wise11PassThroughES8_S8_LNS6_6device18GemmSpecializationE4ELi64ELi32ELi32ELi256ELi8ELi8ELi16ELi16ELi2ELi1ENS_8SequenceIJLi32ELi2ELi1EEEENSB_IJLi1ELi0ELi2EEEESD_Li2ELi8ELi8ELb0ELi0ESC_SD_SD_Li2ELi8ELi8ELb0ELi0ELi1ELi1ENSB_IJLi1ELi16ELi1ELi4EEEELi4ELNS_26BlockGemmPipelineSchedulerE1ELNS_24BlockGemmPipelineVersionE1EDF16_DF16_Lb0ELb0ELb0ELi0ELb0EEELb1ELNS_25InMemoryDataOperationEnumE1ELi2ELNS_10TailNumberE2EEEvNT_8ArgumentE ; -- Begin function _ZN2ck27kernel_gemm_xdl_cshuffle_v3INS_28GridwiseGemm_xdl_cshuffle_v3INS_13tensor_layout4gemm8RowMajorENS3_11ColumnMajorES4_DF16_DF16_fDF16_DF16_NS_16tensor_operation12element_wise11PassThroughES8_S8_LNS6_6device18GemmSpecializationE4ELi64ELi32ELi32ELi256ELi8ELi8ELi16ELi16ELi2ELi1ENS_8SequenceIJLi32ELi2ELi1EEEENSB_IJLi1ELi0ELi2EEEESD_Li2ELi8ELi8ELb0ELi0ESC_SD_SD_Li2ELi8ELi8ELb0ELi0ELi1ELi1ENSB_IJLi1ELi16ELi1ELi4EEEELi4ELNS_26BlockGemmPipelineSchedulerE1ELNS_24BlockGemmPipelineVersionE1EDF16_DF16_Lb0ELb0ELb0ELi0ELb0EEELb1ELNS_25InMemoryDataOperationEnumE1ELi2ELNS_10TailNumberE2EEEvNT_8ArgumentE
	.globl	_ZN2ck27kernel_gemm_xdl_cshuffle_v3INS_28GridwiseGemm_xdl_cshuffle_v3INS_13tensor_layout4gemm8RowMajorENS3_11ColumnMajorES4_DF16_DF16_fDF16_DF16_NS_16tensor_operation12element_wise11PassThroughES8_S8_LNS6_6device18GemmSpecializationE4ELi64ELi32ELi32ELi256ELi8ELi8ELi16ELi16ELi2ELi1ENS_8SequenceIJLi32ELi2ELi1EEEENSB_IJLi1ELi0ELi2EEEESD_Li2ELi8ELi8ELb0ELi0ESC_SD_SD_Li2ELi8ELi8ELb0ELi0ELi1ELi1ENSB_IJLi1ELi16ELi1ELi4EEEELi4ELNS_26BlockGemmPipelineSchedulerE1ELNS_24BlockGemmPipelineVersionE1EDF16_DF16_Lb0ELb0ELb0ELi0ELb0EEELb1ELNS_25InMemoryDataOperationEnumE1ELi2ELNS_10TailNumberE2EEEvNT_8ArgumentE
	.p2align	8
	.type	_ZN2ck27kernel_gemm_xdl_cshuffle_v3INS_28GridwiseGemm_xdl_cshuffle_v3INS_13tensor_layout4gemm8RowMajorENS3_11ColumnMajorES4_DF16_DF16_fDF16_DF16_NS_16tensor_operation12element_wise11PassThroughES8_S8_LNS6_6device18GemmSpecializationE4ELi64ELi32ELi32ELi256ELi8ELi8ELi16ELi16ELi2ELi1ENS_8SequenceIJLi32ELi2ELi1EEEENSB_IJLi1ELi0ELi2EEEESD_Li2ELi8ELi8ELb0ELi0ESC_SD_SD_Li2ELi8ELi8ELb0ELi0ELi1ELi1ENSB_IJLi1ELi16ELi1ELi4EEEELi4ELNS_26BlockGemmPipelineSchedulerE1ELNS_24BlockGemmPipelineVersionE1EDF16_DF16_Lb0ELb0ELb0ELi0ELb0EEELb1ELNS_25InMemoryDataOperationEnumE1ELi2ELNS_10TailNumberE2EEEvNT_8ArgumentE,@function
_ZN2ck27kernel_gemm_xdl_cshuffle_v3INS_28GridwiseGemm_xdl_cshuffle_v3INS_13tensor_layout4gemm8RowMajorENS3_11ColumnMajorES4_DF16_DF16_fDF16_DF16_NS_16tensor_operation12element_wise11PassThroughES8_S8_LNS6_6device18GemmSpecializationE4ELi64ELi32ELi32ELi256ELi8ELi8ELi16ELi16ELi2ELi1ENS_8SequenceIJLi32ELi2ELi1EEEENSB_IJLi1ELi0ELi2EEEESD_Li2ELi8ELi8ELb0ELi0ESC_SD_SD_Li2ELi8ELi8ELb0ELi0ELi1ELi1ENSB_IJLi1ELi16ELi1ELi4EEEELi4ELNS_26BlockGemmPipelineSchedulerE1ELNS_24BlockGemmPipelineVersionE1EDF16_DF16_Lb0ELb0ELb0ELi0ELb0EEELb1ELNS_25InMemoryDataOperationEnumE1ELi2ELNS_10TailNumberE2EEEvNT_8ArgumentE: ; @_ZN2ck27kernel_gemm_xdl_cshuffle_v3INS_28GridwiseGemm_xdl_cshuffle_v3INS_13tensor_layout4gemm8RowMajorENS3_11ColumnMajorES4_DF16_DF16_fDF16_DF16_NS_16tensor_operation12element_wise11PassThroughES8_S8_LNS6_6device18GemmSpecializationE4ELi64ELi32ELi32ELi256ELi8ELi8ELi16ELi16ELi2ELi1ENS_8SequenceIJLi32ELi2ELi1EEEENSB_IJLi1ELi0ELi2EEEESD_Li2ELi8ELi8ELb0ELi0ESC_SD_SD_Li2ELi8ELi8ELb0ELi0ELi1ELi1ENSB_IJLi1ELi16ELi1ELi4EEEELi4ELNS_26BlockGemmPipelineSchedulerE1ELNS_24BlockGemmPipelineVersionE1EDF16_DF16_Lb0ELb0ELb0ELi0ELb0EEELb1ELNS_25InMemoryDataOperationEnumE1ELi2ELNS_10TailNumberE2EEEvNT_8ArgumentE
; %bb.0:
	s_endpgm
	.section	.rodata,"a",@progbits
	.p2align	6, 0x0
	.amdhsa_kernel _ZN2ck27kernel_gemm_xdl_cshuffle_v3INS_28GridwiseGemm_xdl_cshuffle_v3INS_13tensor_layout4gemm8RowMajorENS3_11ColumnMajorES4_DF16_DF16_fDF16_DF16_NS_16tensor_operation12element_wise11PassThroughES8_S8_LNS6_6device18GemmSpecializationE4ELi64ELi32ELi32ELi256ELi8ELi8ELi16ELi16ELi2ELi1ENS_8SequenceIJLi32ELi2ELi1EEEENSB_IJLi1ELi0ELi2EEEESD_Li2ELi8ELi8ELb0ELi0ESC_SD_SD_Li2ELi8ELi8ELb0ELi0ELi1ELi1ENSB_IJLi1ELi16ELi1ELi4EEEELi4ELNS_26BlockGemmPipelineSchedulerE1ELNS_24BlockGemmPipelineVersionE1EDF16_DF16_Lb0ELb0ELb0ELi0ELb0EEELb1ELNS_25InMemoryDataOperationEnumE1ELi2ELNS_10TailNumberE2EEEvNT_8ArgumentE
		.amdhsa_group_segment_fixed_size 0
		.amdhsa_private_segment_fixed_size 0
		.amdhsa_kernarg_size 112
		.amdhsa_user_sgpr_count 6
		.amdhsa_user_sgpr_private_segment_buffer 1
		.amdhsa_user_sgpr_dispatch_ptr 0
		.amdhsa_user_sgpr_queue_ptr 0
		.amdhsa_user_sgpr_kernarg_segment_ptr 1
		.amdhsa_user_sgpr_dispatch_id 0
		.amdhsa_user_sgpr_flat_scratch_init 0
		.amdhsa_user_sgpr_kernarg_preload_length 0
		.amdhsa_user_sgpr_kernarg_preload_offset 0
		.amdhsa_user_sgpr_private_segment_size 0
		.amdhsa_uses_dynamic_stack 0
		.amdhsa_system_sgpr_private_segment_wavefront_offset 0
		.amdhsa_system_sgpr_workgroup_id_x 1
		.amdhsa_system_sgpr_workgroup_id_y 0
		.amdhsa_system_sgpr_workgroup_id_z 0
		.amdhsa_system_sgpr_workgroup_info 0
		.amdhsa_system_vgpr_workitem_id 0
		.amdhsa_next_free_vgpr 1
		.amdhsa_next_free_sgpr 0
		.amdhsa_accum_offset 4
		.amdhsa_reserve_vcc 0
		.amdhsa_reserve_flat_scratch 0
		.amdhsa_float_round_mode_32 0
		.amdhsa_float_round_mode_16_64 0
		.amdhsa_float_denorm_mode_32 3
		.amdhsa_float_denorm_mode_16_64 3
		.amdhsa_dx10_clamp 1
		.amdhsa_ieee_mode 1
		.amdhsa_fp16_overflow 0
		.amdhsa_tg_split 0
		.amdhsa_exception_fp_ieee_invalid_op 0
		.amdhsa_exception_fp_denorm_src 0
		.amdhsa_exception_fp_ieee_div_zero 0
		.amdhsa_exception_fp_ieee_overflow 0
		.amdhsa_exception_fp_ieee_underflow 0
		.amdhsa_exception_fp_ieee_inexact 0
		.amdhsa_exception_int_div_zero 0
	.end_amdhsa_kernel
	.section	.text._ZN2ck27kernel_gemm_xdl_cshuffle_v3INS_28GridwiseGemm_xdl_cshuffle_v3INS_13tensor_layout4gemm8RowMajorENS3_11ColumnMajorES4_DF16_DF16_fDF16_DF16_NS_16tensor_operation12element_wise11PassThroughES8_S8_LNS6_6device18GemmSpecializationE4ELi64ELi32ELi32ELi256ELi8ELi8ELi16ELi16ELi2ELi1ENS_8SequenceIJLi32ELi2ELi1EEEENSB_IJLi1ELi0ELi2EEEESD_Li2ELi8ELi8ELb0ELi0ESC_SD_SD_Li2ELi8ELi8ELb0ELi0ELi1ELi1ENSB_IJLi1ELi16ELi1ELi4EEEELi4ELNS_26BlockGemmPipelineSchedulerE1ELNS_24BlockGemmPipelineVersionE1EDF16_DF16_Lb0ELb0ELb0ELi0ELb0EEELb1ELNS_25InMemoryDataOperationEnumE1ELi2ELNS_10TailNumberE2EEEvNT_8ArgumentE,"axG",@progbits,_ZN2ck27kernel_gemm_xdl_cshuffle_v3INS_28GridwiseGemm_xdl_cshuffle_v3INS_13tensor_layout4gemm8RowMajorENS3_11ColumnMajorES4_DF16_DF16_fDF16_DF16_NS_16tensor_operation12element_wise11PassThroughES8_S8_LNS6_6device18GemmSpecializationE4ELi64ELi32ELi32ELi256ELi8ELi8ELi16ELi16ELi2ELi1ENS_8SequenceIJLi32ELi2ELi1EEEENSB_IJLi1ELi0ELi2EEEESD_Li2ELi8ELi8ELb0ELi0ESC_SD_SD_Li2ELi8ELi8ELb0ELi0ELi1ELi1ENSB_IJLi1ELi16ELi1ELi4EEEELi4ELNS_26BlockGemmPipelineSchedulerE1ELNS_24BlockGemmPipelineVersionE1EDF16_DF16_Lb0ELb0ELb0ELi0ELb0EEELb1ELNS_25InMemoryDataOperationEnumE1ELi2ELNS_10TailNumberE2EEEvNT_8ArgumentE,comdat
.Lfunc_end5:
	.size	_ZN2ck27kernel_gemm_xdl_cshuffle_v3INS_28GridwiseGemm_xdl_cshuffle_v3INS_13tensor_layout4gemm8RowMajorENS3_11ColumnMajorES4_DF16_DF16_fDF16_DF16_NS_16tensor_operation12element_wise11PassThroughES8_S8_LNS6_6device18GemmSpecializationE4ELi64ELi32ELi32ELi256ELi8ELi8ELi16ELi16ELi2ELi1ENS_8SequenceIJLi32ELi2ELi1EEEENSB_IJLi1ELi0ELi2EEEESD_Li2ELi8ELi8ELb0ELi0ESC_SD_SD_Li2ELi8ELi8ELb0ELi0ELi1ELi1ENSB_IJLi1ELi16ELi1ELi4EEEELi4ELNS_26BlockGemmPipelineSchedulerE1ELNS_24BlockGemmPipelineVersionE1EDF16_DF16_Lb0ELb0ELb0ELi0ELb0EEELb1ELNS_25InMemoryDataOperationEnumE1ELi2ELNS_10TailNumberE2EEEvNT_8ArgumentE, .Lfunc_end5-_ZN2ck27kernel_gemm_xdl_cshuffle_v3INS_28GridwiseGemm_xdl_cshuffle_v3INS_13tensor_layout4gemm8RowMajorENS3_11ColumnMajorES4_DF16_DF16_fDF16_DF16_NS_16tensor_operation12element_wise11PassThroughES8_S8_LNS6_6device18GemmSpecializationE4ELi64ELi32ELi32ELi256ELi8ELi8ELi16ELi16ELi2ELi1ENS_8SequenceIJLi32ELi2ELi1EEEENSB_IJLi1ELi0ELi2EEEESD_Li2ELi8ELi8ELb0ELi0ESC_SD_SD_Li2ELi8ELi8ELb0ELi0ELi1ELi1ENSB_IJLi1ELi16ELi1ELi4EEEELi4ELNS_26BlockGemmPipelineSchedulerE1ELNS_24BlockGemmPipelineVersionE1EDF16_DF16_Lb0ELb0ELb0ELi0ELb0EEELb1ELNS_25InMemoryDataOperationEnumE1ELi2ELNS_10TailNumberE2EEEvNT_8ArgumentE
                                        ; -- End function
	.section	.AMDGPU.csdata,"",@progbits
; Kernel info:
; codeLenInByte = 4
; NumSgprs: 4
; NumVgprs: 0
; NumAgprs: 0
; TotalNumVgprs: 0
; ScratchSize: 0
; MemoryBound: 0
; FloatMode: 240
; IeeeMode: 1
; LDSByteSize: 0 bytes/workgroup (compile time only)
; SGPRBlocks: 0
; VGPRBlocks: 0
; NumSGPRsForWavesPerEU: 4
; NumVGPRsForWavesPerEU: 1
; AccumOffset: 4
; Occupancy: 8
; WaveLimiterHint : 0
; COMPUTE_PGM_RSRC2:SCRATCH_EN: 0
; COMPUTE_PGM_RSRC2:USER_SGPR: 6
; COMPUTE_PGM_RSRC2:TRAP_HANDLER: 0
; COMPUTE_PGM_RSRC2:TGID_X_EN: 1
; COMPUTE_PGM_RSRC2:TGID_Y_EN: 0
; COMPUTE_PGM_RSRC2:TGID_Z_EN: 0
; COMPUTE_PGM_RSRC2:TIDIG_COMP_CNT: 0
; COMPUTE_PGM_RSRC3_GFX90A:ACCUM_OFFSET: 0
; COMPUTE_PGM_RSRC3_GFX90A:TG_SPLIT: 0
	.section	.text._ZN2ck27kernel_gemm_xdl_cshuffle_v3INS_28GridwiseGemm_xdl_cshuffle_v3INS_13tensor_layout4gemm8RowMajorENS3_11ColumnMajorES4_DF16_DF16_fDF16_DF16_NS_16tensor_operation12element_wise11PassThroughES8_S8_LNS6_6device18GemmSpecializationE4ELi64ELi32ELi32ELi256ELi8ELi8ELi16ELi16ELi2ELi1ENS_8SequenceIJLi32ELi2ELi1EEEENSB_IJLi1ELi0ELi2EEEESD_Li2ELi8ELi8ELb0ELi0ESC_SD_SD_Li2ELi8ELi8ELb0ELi0ELi1ELi1ENSB_IJLi1ELi16ELi1ELi4EEEELi4ELNS_26BlockGemmPipelineSchedulerE1ELNS_24BlockGemmPipelineVersionE1EDF16_DF16_Lb0ELb0ELb0ELi0ELb0EEELb1ELNS_25InMemoryDataOperationEnumE1ELi2ELNS_10TailNumberE10EEEvNT_8ArgumentE,"axG",@progbits,_ZN2ck27kernel_gemm_xdl_cshuffle_v3INS_28GridwiseGemm_xdl_cshuffle_v3INS_13tensor_layout4gemm8RowMajorENS3_11ColumnMajorES4_DF16_DF16_fDF16_DF16_NS_16tensor_operation12element_wise11PassThroughES8_S8_LNS6_6device18GemmSpecializationE4ELi64ELi32ELi32ELi256ELi8ELi8ELi16ELi16ELi2ELi1ENS_8SequenceIJLi32ELi2ELi1EEEENSB_IJLi1ELi0ELi2EEEESD_Li2ELi8ELi8ELb0ELi0ESC_SD_SD_Li2ELi8ELi8ELb0ELi0ELi1ELi1ENSB_IJLi1ELi16ELi1ELi4EEEELi4ELNS_26BlockGemmPipelineSchedulerE1ELNS_24BlockGemmPipelineVersionE1EDF16_DF16_Lb0ELb0ELb0ELi0ELb0EEELb1ELNS_25InMemoryDataOperationEnumE1ELi2ELNS_10TailNumberE10EEEvNT_8ArgumentE,comdat
	.protected	_ZN2ck27kernel_gemm_xdl_cshuffle_v3INS_28GridwiseGemm_xdl_cshuffle_v3INS_13tensor_layout4gemm8RowMajorENS3_11ColumnMajorES4_DF16_DF16_fDF16_DF16_NS_16tensor_operation12element_wise11PassThroughES8_S8_LNS6_6device18GemmSpecializationE4ELi64ELi32ELi32ELi256ELi8ELi8ELi16ELi16ELi2ELi1ENS_8SequenceIJLi32ELi2ELi1EEEENSB_IJLi1ELi0ELi2EEEESD_Li2ELi8ELi8ELb0ELi0ESC_SD_SD_Li2ELi8ELi8ELb0ELi0ELi1ELi1ENSB_IJLi1ELi16ELi1ELi4EEEELi4ELNS_26BlockGemmPipelineSchedulerE1ELNS_24BlockGemmPipelineVersionE1EDF16_DF16_Lb0ELb0ELb0ELi0ELb0EEELb1ELNS_25InMemoryDataOperationEnumE1ELi2ELNS_10TailNumberE10EEEvNT_8ArgumentE ; -- Begin function _ZN2ck27kernel_gemm_xdl_cshuffle_v3INS_28GridwiseGemm_xdl_cshuffle_v3INS_13tensor_layout4gemm8RowMajorENS3_11ColumnMajorES4_DF16_DF16_fDF16_DF16_NS_16tensor_operation12element_wise11PassThroughES8_S8_LNS6_6device18GemmSpecializationE4ELi64ELi32ELi32ELi256ELi8ELi8ELi16ELi16ELi2ELi1ENS_8SequenceIJLi32ELi2ELi1EEEENSB_IJLi1ELi0ELi2EEEESD_Li2ELi8ELi8ELb0ELi0ESC_SD_SD_Li2ELi8ELi8ELb0ELi0ELi1ELi1ENSB_IJLi1ELi16ELi1ELi4EEEELi4ELNS_26BlockGemmPipelineSchedulerE1ELNS_24BlockGemmPipelineVersionE1EDF16_DF16_Lb0ELb0ELb0ELi0ELb0EEELb1ELNS_25InMemoryDataOperationEnumE1ELi2ELNS_10TailNumberE10EEEvNT_8ArgumentE
	.globl	_ZN2ck27kernel_gemm_xdl_cshuffle_v3INS_28GridwiseGemm_xdl_cshuffle_v3INS_13tensor_layout4gemm8RowMajorENS3_11ColumnMajorES4_DF16_DF16_fDF16_DF16_NS_16tensor_operation12element_wise11PassThroughES8_S8_LNS6_6device18GemmSpecializationE4ELi64ELi32ELi32ELi256ELi8ELi8ELi16ELi16ELi2ELi1ENS_8SequenceIJLi32ELi2ELi1EEEENSB_IJLi1ELi0ELi2EEEESD_Li2ELi8ELi8ELb0ELi0ESC_SD_SD_Li2ELi8ELi8ELb0ELi0ELi1ELi1ENSB_IJLi1ELi16ELi1ELi4EEEELi4ELNS_26BlockGemmPipelineSchedulerE1ELNS_24BlockGemmPipelineVersionE1EDF16_DF16_Lb0ELb0ELb0ELi0ELb0EEELb1ELNS_25InMemoryDataOperationEnumE1ELi2ELNS_10TailNumberE10EEEvNT_8ArgumentE
	.p2align	8
	.type	_ZN2ck27kernel_gemm_xdl_cshuffle_v3INS_28GridwiseGemm_xdl_cshuffle_v3INS_13tensor_layout4gemm8RowMajorENS3_11ColumnMajorES4_DF16_DF16_fDF16_DF16_NS_16tensor_operation12element_wise11PassThroughES8_S8_LNS6_6device18GemmSpecializationE4ELi64ELi32ELi32ELi256ELi8ELi8ELi16ELi16ELi2ELi1ENS_8SequenceIJLi32ELi2ELi1EEEENSB_IJLi1ELi0ELi2EEEESD_Li2ELi8ELi8ELb0ELi0ESC_SD_SD_Li2ELi8ELi8ELb0ELi0ELi1ELi1ENSB_IJLi1ELi16ELi1ELi4EEEELi4ELNS_26BlockGemmPipelineSchedulerE1ELNS_24BlockGemmPipelineVersionE1EDF16_DF16_Lb0ELb0ELb0ELi0ELb0EEELb1ELNS_25InMemoryDataOperationEnumE1ELi2ELNS_10TailNumberE10EEEvNT_8ArgumentE,@function
_ZN2ck27kernel_gemm_xdl_cshuffle_v3INS_28GridwiseGemm_xdl_cshuffle_v3INS_13tensor_layout4gemm8RowMajorENS3_11ColumnMajorES4_DF16_DF16_fDF16_DF16_NS_16tensor_operation12element_wise11PassThroughES8_S8_LNS6_6device18GemmSpecializationE4ELi64ELi32ELi32ELi256ELi8ELi8ELi16ELi16ELi2ELi1ENS_8SequenceIJLi32ELi2ELi1EEEENSB_IJLi1ELi0ELi2EEEESD_Li2ELi8ELi8ELb0ELi0ESC_SD_SD_Li2ELi8ELi8ELb0ELi0ELi1ELi1ENSB_IJLi1ELi16ELi1ELi4EEEELi4ELNS_26BlockGemmPipelineSchedulerE1ELNS_24BlockGemmPipelineVersionE1EDF16_DF16_Lb0ELb0ELb0ELi0ELb0EEELb1ELNS_25InMemoryDataOperationEnumE1ELi2ELNS_10TailNumberE10EEEvNT_8ArgumentE: ; @_ZN2ck27kernel_gemm_xdl_cshuffle_v3INS_28GridwiseGemm_xdl_cshuffle_v3INS_13tensor_layout4gemm8RowMajorENS3_11ColumnMajorES4_DF16_DF16_fDF16_DF16_NS_16tensor_operation12element_wise11PassThroughES8_S8_LNS6_6device18GemmSpecializationE4ELi64ELi32ELi32ELi256ELi8ELi8ELi16ELi16ELi2ELi1ENS_8SequenceIJLi32ELi2ELi1EEEENSB_IJLi1ELi0ELi2EEEESD_Li2ELi8ELi8ELb0ELi0ESC_SD_SD_Li2ELi8ELi8ELb0ELi0ELi1ELi1ENSB_IJLi1ELi16ELi1ELi4EEEELi4ELNS_26BlockGemmPipelineSchedulerE1ELNS_24BlockGemmPipelineVersionE1EDF16_DF16_Lb0ELb0ELb0ELi0ELb0EEELb1ELNS_25InMemoryDataOperationEnumE1ELi2ELNS_10TailNumberE10EEEvNT_8ArgumentE
; %bb.0:
	s_endpgm
	.section	.rodata,"a",@progbits
	.p2align	6, 0x0
	.amdhsa_kernel _ZN2ck27kernel_gemm_xdl_cshuffle_v3INS_28GridwiseGemm_xdl_cshuffle_v3INS_13tensor_layout4gemm8RowMajorENS3_11ColumnMajorES4_DF16_DF16_fDF16_DF16_NS_16tensor_operation12element_wise11PassThroughES8_S8_LNS6_6device18GemmSpecializationE4ELi64ELi32ELi32ELi256ELi8ELi8ELi16ELi16ELi2ELi1ENS_8SequenceIJLi32ELi2ELi1EEEENSB_IJLi1ELi0ELi2EEEESD_Li2ELi8ELi8ELb0ELi0ESC_SD_SD_Li2ELi8ELi8ELb0ELi0ELi1ELi1ENSB_IJLi1ELi16ELi1ELi4EEEELi4ELNS_26BlockGemmPipelineSchedulerE1ELNS_24BlockGemmPipelineVersionE1EDF16_DF16_Lb0ELb0ELb0ELi0ELb0EEELb1ELNS_25InMemoryDataOperationEnumE1ELi2ELNS_10TailNumberE10EEEvNT_8ArgumentE
		.amdhsa_group_segment_fixed_size 0
		.amdhsa_private_segment_fixed_size 0
		.amdhsa_kernarg_size 112
		.amdhsa_user_sgpr_count 6
		.amdhsa_user_sgpr_private_segment_buffer 1
		.amdhsa_user_sgpr_dispatch_ptr 0
		.amdhsa_user_sgpr_queue_ptr 0
		.amdhsa_user_sgpr_kernarg_segment_ptr 1
		.amdhsa_user_sgpr_dispatch_id 0
		.amdhsa_user_sgpr_flat_scratch_init 0
		.amdhsa_user_sgpr_kernarg_preload_length 0
		.amdhsa_user_sgpr_kernarg_preload_offset 0
		.amdhsa_user_sgpr_private_segment_size 0
		.amdhsa_uses_dynamic_stack 0
		.amdhsa_system_sgpr_private_segment_wavefront_offset 0
		.amdhsa_system_sgpr_workgroup_id_x 1
		.amdhsa_system_sgpr_workgroup_id_y 0
		.amdhsa_system_sgpr_workgroup_id_z 0
		.amdhsa_system_sgpr_workgroup_info 0
		.amdhsa_system_vgpr_workitem_id 0
		.amdhsa_next_free_vgpr 1
		.amdhsa_next_free_sgpr 0
		.amdhsa_accum_offset 4
		.amdhsa_reserve_vcc 0
		.amdhsa_reserve_flat_scratch 0
		.amdhsa_float_round_mode_32 0
		.amdhsa_float_round_mode_16_64 0
		.amdhsa_float_denorm_mode_32 3
		.amdhsa_float_denorm_mode_16_64 3
		.amdhsa_dx10_clamp 1
		.amdhsa_ieee_mode 1
		.amdhsa_fp16_overflow 0
		.amdhsa_tg_split 0
		.amdhsa_exception_fp_ieee_invalid_op 0
		.amdhsa_exception_fp_denorm_src 0
		.amdhsa_exception_fp_ieee_div_zero 0
		.amdhsa_exception_fp_ieee_overflow 0
		.amdhsa_exception_fp_ieee_underflow 0
		.amdhsa_exception_fp_ieee_inexact 0
		.amdhsa_exception_int_div_zero 0
	.end_amdhsa_kernel
	.section	.text._ZN2ck27kernel_gemm_xdl_cshuffle_v3INS_28GridwiseGemm_xdl_cshuffle_v3INS_13tensor_layout4gemm8RowMajorENS3_11ColumnMajorES4_DF16_DF16_fDF16_DF16_NS_16tensor_operation12element_wise11PassThroughES8_S8_LNS6_6device18GemmSpecializationE4ELi64ELi32ELi32ELi256ELi8ELi8ELi16ELi16ELi2ELi1ENS_8SequenceIJLi32ELi2ELi1EEEENSB_IJLi1ELi0ELi2EEEESD_Li2ELi8ELi8ELb0ELi0ESC_SD_SD_Li2ELi8ELi8ELb0ELi0ELi1ELi1ENSB_IJLi1ELi16ELi1ELi4EEEELi4ELNS_26BlockGemmPipelineSchedulerE1ELNS_24BlockGemmPipelineVersionE1EDF16_DF16_Lb0ELb0ELb0ELi0ELb0EEELb1ELNS_25InMemoryDataOperationEnumE1ELi2ELNS_10TailNumberE10EEEvNT_8ArgumentE,"axG",@progbits,_ZN2ck27kernel_gemm_xdl_cshuffle_v3INS_28GridwiseGemm_xdl_cshuffle_v3INS_13tensor_layout4gemm8RowMajorENS3_11ColumnMajorES4_DF16_DF16_fDF16_DF16_NS_16tensor_operation12element_wise11PassThroughES8_S8_LNS6_6device18GemmSpecializationE4ELi64ELi32ELi32ELi256ELi8ELi8ELi16ELi16ELi2ELi1ENS_8SequenceIJLi32ELi2ELi1EEEENSB_IJLi1ELi0ELi2EEEESD_Li2ELi8ELi8ELb0ELi0ESC_SD_SD_Li2ELi8ELi8ELb0ELi0ELi1ELi1ENSB_IJLi1ELi16ELi1ELi4EEEELi4ELNS_26BlockGemmPipelineSchedulerE1ELNS_24BlockGemmPipelineVersionE1EDF16_DF16_Lb0ELb0ELb0ELi0ELb0EEELb1ELNS_25InMemoryDataOperationEnumE1ELi2ELNS_10TailNumberE10EEEvNT_8ArgumentE,comdat
.Lfunc_end6:
	.size	_ZN2ck27kernel_gemm_xdl_cshuffle_v3INS_28GridwiseGemm_xdl_cshuffle_v3INS_13tensor_layout4gemm8RowMajorENS3_11ColumnMajorES4_DF16_DF16_fDF16_DF16_NS_16tensor_operation12element_wise11PassThroughES8_S8_LNS6_6device18GemmSpecializationE4ELi64ELi32ELi32ELi256ELi8ELi8ELi16ELi16ELi2ELi1ENS_8SequenceIJLi32ELi2ELi1EEEENSB_IJLi1ELi0ELi2EEEESD_Li2ELi8ELi8ELb0ELi0ESC_SD_SD_Li2ELi8ELi8ELb0ELi0ELi1ELi1ENSB_IJLi1ELi16ELi1ELi4EEEELi4ELNS_26BlockGemmPipelineSchedulerE1ELNS_24BlockGemmPipelineVersionE1EDF16_DF16_Lb0ELb0ELb0ELi0ELb0EEELb1ELNS_25InMemoryDataOperationEnumE1ELi2ELNS_10TailNumberE10EEEvNT_8ArgumentE, .Lfunc_end6-_ZN2ck27kernel_gemm_xdl_cshuffle_v3INS_28GridwiseGemm_xdl_cshuffle_v3INS_13tensor_layout4gemm8RowMajorENS3_11ColumnMajorES4_DF16_DF16_fDF16_DF16_NS_16tensor_operation12element_wise11PassThroughES8_S8_LNS6_6device18GemmSpecializationE4ELi64ELi32ELi32ELi256ELi8ELi8ELi16ELi16ELi2ELi1ENS_8SequenceIJLi32ELi2ELi1EEEENSB_IJLi1ELi0ELi2EEEESD_Li2ELi8ELi8ELb0ELi0ESC_SD_SD_Li2ELi8ELi8ELb0ELi0ELi1ELi1ENSB_IJLi1ELi16ELi1ELi4EEEELi4ELNS_26BlockGemmPipelineSchedulerE1ELNS_24BlockGemmPipelineVersionE1EDF16_DF16_Lb0ELb0ELb0ELi0ELb0EEELb1ELNS_25InMemoryDataOperationEnumE1ELi2ELNS_10TailNumberE10EEEvNT_8ArgumentE
                                        ; -- End function
	.section	.AMDGPU.csdata,"",@progbits
; Kernel info:
; codeLenInByte = 4
; NumSgprs: 4
; NumVgprs: 0
; NumAgprs: 0
; TotalNumVgprs: 0
; ScratchSize: 0
; MemoryBound: 0
; FloatMode: 240
; IeeeMode: 1
; LDSByteSize: 0 bytes/workgroup (compile time only)
; SGPRBlocks: 0
; VGPRBlocks: 0
; NumSGPRsForWavesPerEU: 4
; NumVGPRsForWavesPerEU: 1
; AccumOffset: 4
; Occupancy: 8
; WaveLimiterHint : 0
; COMPUTE_PGM_RSRC2:SCRATCH_EN: 0
; COMPUTE_PGM_RSRC2:USER_SGPR: 6
; COMPUTE_PGM_RSRC2:TRAP_HANDLER: 0
; COMPUTE_PGM_RSRC2:TGID_X_EN: 1
; COMPUTE_PGM_RSRC2:TGID_Y_EN: 0
; COMPUTE_PGM_RSRC2:TGID_Z_EN: 0
; COMPUTE_PGM_RSRC2:TIDIG_COMP_CNT: 0
; COMPUTE_PGM_RSRC3_GFX90A:ACCUM_OFFSET: 0
; COMPUTE_PGM_RSRC3_GFX90A:TG_SPLIT: 0
	.section	.text._ZN2ck27kernel_gemm_xdl_cshuffle_v3INS_28GridwiseGemm_xdl_cshuffle_v3INS_13tensor_layout4gemm8RowMajorENS3_11ColumnMajorES4_DF16_DF16_fDF16_DF16_NS_16tensor_operation12element_wise11PassThroughES8_S8_LNS6_6device18GemmSpecializationE4ELi64ELi32ELi32ELi256ELi8ELi8ELi16ELi16ELi2ELi1ENS_8SequenceIJLi32ELi2ELi1EEEENSB_IJLi1ELi0ELi2EEEESD_Li2ELi8ELi8ELb0ELi0ESC_SD_SD_Li2ELi8ELi8ELb0ELi0ELi1ELi1ENSB_IJLi1ELi16ELi1ELi4EEEELi4ELNS_26BlockGemmPipelineSchedulerE1ELNS_24BlockGemmPipelineVersionE1EDF16_DF16_Lb0ELb0ELb0ELi0ELb0EEELb1ELNS_25InMemoryDataOperationEnumE0ELi2ELNS_10TailNumberE2EEEvNT_8ArgumentE,"axG",@progbits,_ZN2ck27kernel_gemm_xdl_cshuffle_v3INS_28GridwiseGemm_xdl_cshuffle_v3INS_13tensor_layout4gemm8RowMajorENS3_11ColumnMajorES4_DF16_DF16_fDF16_DF16_NS_16tensor_operation12element_wise11PassThroughES8_S8_LNS6_6device18GemmSpecializationE4ELi64ELi32ELi32ELi256ELi8ELi8ELi16ELi16ELi2ELi1ENS_8SequenceIJLi32ELi2ELi1EEEENSB_IJLi1ELi0ELi2EEEESD_Li2ELi8ELi8ELb0ELi0ESC_SD_SD_Li2ELi8ELi8ELb0ELi0ELi1ELi1ENSB_IJLi1ELi16ELi1ELi4EEEELi4ELNS_26BlockGemmPipelineSchedulerE1ELNS_24BlockGemmPipelineVersionE1EDF16_DF16_Lb0ELb0ELb0ELi0ELb0EEELb1ELNS_25InMemoryDataOperationEnumE0ELi2ELNS_10TailNumberE2EEEvNT_8ArgumentE,comdat
	.protected	_ZN2ck27kernel_gemm_xdl_cshuffle_v3INS_28GridwiseGemm_xdl_cshuffle_v3INS_13tensor_layout4gemm8RowMajorENS3_11ColumnMajorES4_DF16_DF16_fDF16_DF16_NS_16tensor_operation12element_wise11PassThroughES8_S8_LNS6_6device18GemmSpecializationE4ELi64ELi32ELi32ELi256ELi8ELi8ELi16ELi16ELi2ELi1ENS_8SequenceIJLi32ELi2ELi1EEEENSB_IJLi1ELi0ELi2EEEESD_Li2ELi8ELi8ELb0ELi0ESC_SD_SD_Li2ELi8ELi8ELb0ELi0ELi1ELi1ENSB_IJLi1ELi16ELi1ELi4EEEELi4ELNS_26BlockGemmPipelineSchedulerE1ELNS_24BlockGemmPipelineVersionE1EDF16_DF16_Lb0ELb0ELb0ELi0ELb0EEELb1ELNS_25InMemoryDataOperationEnumE0ELi2ELNS_10TailNumberE2EEEvNT_8ArgumentE ; -- Begin function _ZN2ck27kernel_gemm_xdl_cshuffle_v3INS_28GridwiseGemm_xdl_cshuffle_v3INS_13tensor_layout4gemm8RowMajorENS3_11ColumnMajorES4_DF16_DF16_fDF16_DF16_NS_16tensor_operation12element_wise11PassThroughES8_S8_LNS6_6device18GemmSpecializationE4ELi64ELi32ELi32ELi256ELi8ELi8ELi16ELi16ELi2ELi1ENS_8SequenceIJLi32ELi2ELi1EEEENSB_IJLi1ELi0ELi2EEEESD_Li2ELi8ELi8ELb0ELi0ESC_SD_SD_Li2ELi8ELi8ELb0ELi0ELi1ELi1ENSB_IJLi1ELi16ELi1ELi4EEEELi4ELNS_26BlockGemmPipelineSchedulerE1ELNS_24BlockGemmPipelineVersionE1EDF16_DF16_Lb0ELb0ELb0ELi0ELb0EEELb1ELNS_25InMemoryDataOperationEnumE0ELi2ELNS_10TailNumberE2EEEvNT_8ArgumentE
	.globl	_ZN2ck27kernel_gemm_xdl_cshuffle_v3INS_28GridwiseGemm_xdl_cshuffle_v3INS_13tensor_layout4gemm8RowMajorENS3_11ColumnMajorES4_DF16_DF16_fDF16_DF16_NS_16tensor_operation12element_wise11PassThroughES8_S8_LNS6_6device18GemmSpecializationE4ELi64ELi32ELi32ELi256ELi8ELi8ELi16ELi16ELi2ELi1ENS_8SequenceIJLi32ELi2ELi1EEEENSB_IJLi1ELi0ELi2EEEESD_Li2ELi8ELi8ELb0ELi0ESC_SD_SD_Li2ELi8ELi8ELb0ELi0ELi1ELi1ENSB_IJLi1ELi16ELi1ELi4EEEELi4ELNS_26BlockGemmPipelineSchedulerE1ELNS_24BlockGemmPipelineVersionE1EDF16_DF16_Lb0ELb0ELb0ELi0ELb0EEELb1ELNS_25InMemoryDataOperationEnumE0ELi2ELNS_10TailNumberE2EEEvNT_8ArgumentE
	.p2align	8
	.type	_ZN2ck27kernel_gemm_xdl_cshuffle_v3INS_28GridwiseGemm_xdl_cshuffle_v3INS_13tensor_layout4gemm8RowMajorENS3_11ColumnMajorES4_DF16_DF16_fDF16_DF16_NS_16tensor_operation12element_wise11PassThroughES8_S8_LNS6_6device18GemmSpecializationE4ELi64ELi32ELi32ELi256ELi8ELi8ELi16ELi16ELi2ELi1ENS_8SequenceIJLi32ELi2ELi1EEEENSB_IJLi1ELi0ELi2EEEESD_Li2ELi8ELi8ELb0ELi0ESC_SD_SD_Li2ELi8ELi8ELb0ELi0ELi1ELi1ENSB_IJLi1ELi16ELi1ELi4EEEELi4ELNS_26BlockGemmPipelineSchedulerE1ELNS_24BlockGemmPipelineVersionE1EDF16_DF16_Lb0ELb0ELb0ELi0ELb0EEELb1ELNS_25InMemoryDataOperationEnumE0ELi2ELNS_10TailNumberE2EEEvNT_8ArgumentE,@function
_ZN2ck27kernel_gemm_xdl_cshuffle_v3INS_28GridwiseGemm_xdl_cshuffle_v3INS_13tensor_layout4gemm8RowMajorENS3_11ColumnMajorES4_DF16_DF16_fDF16_DF16_NS_16tensor_operation12element_wise11PassThroughES8_S8_LNS6_6device18GemmSpecializationE4ELi64ELi32ELi32ELi256ELi8ELi8ELi16ELi16ELi2ELi1ENS_8SequenceIJLi32ELi2ELi1EEEENSB_IJLi1ELi0ELi2EEEESD_Li2ELi8ELi8ELb0ELi0ESC_SD_SD_Li2ELi8ELi8ELb0ELi0ELi1ELi1ENSB_IJLi1ELi16ELi1ELi4EEEELi4ELNS_26BlockGemmPipelineSchedulerE1ELNS_24BlockGemmPipelineVersionE1EDF16_DF16_Lb0ELb0ELb0ELi0ELb0EEELb1ELNS_25InMemoryDataOperationEnumE0ELi2ELNS_10TailNumberE2EEEvNT_8ArgumentE: ; @_ZN2ck27kernel_gemm_xdl_cshuffle_v3INS_28GridwiseGemm_xdl_cshuffle_v3INS_13tensor_layout4gemm8RowMajorENS3_11ColumnMajorES4_DF16_DF16_fDF16_DF16_NS_16tensor_operation12element_wise11PassThroughES8_S8_LNS6_6device18GemmSpecializationE4ELi64ELi32ELi32ELi256ELi8ELi8ELi16ELi16ELi2ELi1ENS_8SequenceIJLi32ELi2ELi1EEEENSB_IJLi1ELi0ELi2EEEESD_Li2ELi8ELi8ELb0ELi0ESC_SD_SD_Li2ELi8ELi8ELb0ELi0ELi1ELi1ENSB_IJLi1ELi16ELi1ELi4EEEELi4ELNS_26BlockGemmPipelineSchedulerE1ELNS_24BlockGemmPipelineVersionE1EDF16_DF16_Lb0ELb0ELb0ELi0ELb0EEELb1ELNS_25InMemoryDataOperationEnumE0ELi2ELNS_10TailNumberE2EEEvNT_8ArgumentE
; %bb.0:
	s_endpgm
	.section	.rodata,"a",@progbits
	.p2align	6, 0x0
	.amdhsa_kernel _ZN2ck27kernel_gemm_xdl_cshuffle_v3INS_28GridwiseGemm_xdl_cshuffle_v3INS_13tensor_layout4gemm8RowMajorENS3_11ColumnMajorES4_DF16_DF16_fDF16_DF16_NS_16tensor_operation12element_wise11PassThroughES8_S8_LNS6_6device18GemmSpecializationE4ELi64ELi32ELi32ELi256ELi8ELi8ELi16ELi16ELi2ELi1ENS_8SequenceIJLi32ELi2ELi1EEEENSB_IJLi1ELi0ELi2EEEESD_Li2ELi8ELi8ELb0ELi0ESC_SD_SD_Li2ELi8ELi8ELb0ELi0ELi1ELi1ENSB_IJLi1ELi16ELi1ELi4EEEELi4ELNS_26BlockGemmPipelineSchedulerE1ELNS_24BlockGemmPipelineVersionE1EDF16_DF16_Lb0ELb0ELb0ELi0ELb0EEELb1ELNS_25InMemoryDataOperationEnumE0ELi2ELNS_10TailNumberE2EEEvNT_8ArgumentE
		.amdhsa_group_segment_fixed_size 0
		.amdhsa_private_segment_fixed_size 0
		.amdhsa_kernarg_size 112
		.amdhsa_user_sgpr_count 6
		.amdhsa_user_sgpr_private_segment_buffer 1
		.amdhsa_user_sgpr_dispatch_ptr 0
		.amdhsa_user_sgpr_queue_ptr 0
		.amdhsa_user_sgpr_kernarg_segment_ptr 1
		.amdhsa_user_sgpr_dispatch_id 0
		.amdhsa_user_sgpr_flat_scratch_init 0
		.amdhsa_user_sgpr_kernarg_preload_length 0
		.amdhsa_user_sgpr_kernarg_preload_offset 0
		.amdhsa_user_sgpr_private_segment_size 0
		.amdhsa_uses_dynamic_stack 0
		.amdhsa_system_sgpr_private_segment_wavefront_offset 0
		.amdhsa_system_sgpr_workgroup_id_x 1
		.amdhsa_system_sgpr_workgroup_id_y 0
		.amdhsa_system_sgpr_workgroup_id_z 0
		.amdhsa_system_sgpr_workgroup_info 0
		.amdhsa_system_vgpr_workitem_id 0
		.amdhsa_next_free_vgpr 1
		.amdhsa_next_free_sgpr 0
		.amdhsa_accum_offset 4
		.amdhsa_reserve_vcc 0
		.amdhsa_reserve_flat_scratch 0
		.amdhsa_float_round_mode_32 0
		.amdhsa_float_round_mode_16_64 0
		.amdhsa_float_denorm_mode_32 3
		.amdhsa_float_denorm_mode_16_64 3
		.amdhsa_dx10_clamp 1
		.amdhsa_ieee_mode 1
		.amdhsa_fp16_overflow 0
		.amdhsa_tg_split 0
		.amdhsa_exception_fp_ieee_invalid_op 0
		.amdhsa_exception_fp_denorm_src 0
		.amdhsa_exception_fp_ieee_div_zero 0
		.amdhsa_exception_fp_ieee_overflow 0
		.amdhsa_exception_fp_ieee_underflow 0
		.amdhsa_exception_fp_ieee_inexact 0
		.amdhsa_exception_int_div_zero 0
	.end_amdhsa_kernel
	.section	.text._ZN2ck27kernel_gemm_xdl_cshuffle_v3INS_28GridwiseGemm_xdl_cshuffle_v3INS_13tensor_layout4gemm8RowMajorENS3_11ColumnMajorES4_DF16_DF16_fDF16_DF16_NS_16tensor_operation12element_wise11PassThroughES8_S8_LNS6_6device18GemmSpecializationE4ELi64ELi32ELi32ELi256ELi8ELi8ELi16ELi16ELi2ELi1ENS_8SequenceIJLi32ELi2ELi1EEEENSB_IJLi1ELi0ELi2EEEESD_Li2ELi8ELi8ELb0ELi0ESC_SD_SD_Li2ELi8ELi8ELb0ELi0ELi1ELi1ENSB_IJLi1ELi16ELi1ELi4EEEELi4ELNS_26BlockGemmPipelineSchedulerE1ELNS_24BlockGemmPipelineVersionE1EDF16_DF16_Lb0ELb0ELb0ELi0ELb0EEELb1ELNS_25InMemoryDataOperationEnumE0ELi2ELNS_10TailNumberE2EEEvNT_8ArgumentE,"axG",@progbits,_ZN2ck27kernel_gemm_xdl_cshuffle_v3INS_28GridwiseGemm_xdl_cshuffle_v3INS_13tensor_layout4gemm8RowMajorENS3_11ColumnMajorES4_DF16_DF16_fDF16_DF16_NS_16tensor_operation12element_wise11PassThroughES8_S8_LNS6_6device18GemmSpecializationE4ELi64ELi32ELi32ELi256ELi8ELi8ELi16ELi16ELi2ELi1ENS_8SequenceIJLi32ELi2ELi1EEEENSB_IJLi1ELi0ELi2EEEESD_Li2ELi8ELi8ELb0ELi0ESC_SD_SD_Li2ELi8ELi8ELb0ELi0ELi1ELi1ENSB_IJLi1ELi16ELi1ELi4EEEELi4ELNS_26BlockGemmPipelineSchedulerE1ELNS_24BlockGemmPipelineVersionE1EDF16_DF16_Lb0ELb0ELb0ELi0ELb0EEELb1ELNS_25InMemoryDataOperationEnumE0ELi2ELNS_10TailNumberE2EEEvNT_8ArgumentE,comdat
.Lfunc_end7:
	.size	_ZN2ck27kernel_gemm_xdl_cshuffle_v3INS_28GridwiseGemm_xdl_cshuffle_v3INS_13tensor_layout4gemm8RowMajorENS3_11ColumnMajorES4_DF16_DF16_fDF16_DF16_NS_16tensor_operation12element_wise11PassThroughES8_S8_LNS6_6device18GemmSpecializationE4ELi64ELi32ELi32ELi256ELi8ELi8ELi16ELi16ELi2ELi1ENS_8SequenceIJLi32ELi2ELi1EEEENSB_IJLi1ELi0ELi2EEEESD_Li2ELi8ELi8ELb0ELi0ESC_SD_SD_Li2ELi8ELi8ELb0ELi0ELi1ELi1ENSB_IJLi1ELi16ELi1ELi4EEEELi4ELNS_26BlockGemmPipelineSchedulerE1ELNS_24BlockGemmPipelineVersionE1EDF16_DF16_Lb0ELb0ELb0ELi0ELb0EEELb1ELNS_25InMemoryDataOperationEnumE0ELi2ELNS_10TailNumberE2EEEvNT_8ArgumentE, .Lfunc_end7-_ZN2ck27kernel_gemm_xdl_cshuffle_v3INS_28GridwiseGemm_xdl_cshuffle_v3INS_13tensor_layout4gemm8RowMajorENS3_11ColumnMajorES4_DF16_DF16_fDF16_DF16_NS_16tensor_operation12element_wise11PassThroughES8_S8_LNS6_6device18GemmSpecializationE4ELi64ELi32ELi32ELi256ELi8ELi8ELi16ELi16ELi2ELi1ENS_8SequenceIJLi32ELi2ELi1EEEENSB_IJLi1ELi0ELi2EEEESD_Li2ELi8ELi8ELb0ELi0ESC_SD_SD_Li2ELi8ELi8ELb0ELi0ELi1ELi1ENSB_IJLi1ELi16ELi1ELi4EEEELi4ELNS_26BlockGemmPipelineSchedulerE1ELNS_24BlockGemmPipelineVersionE1EDF16_DF16_Lb0ELb0ELb0ELi0ELb0EEELb1ELNS_25InMemoryDataOperationEnumE0ELi2ELNS_10TailNumberE2EEEvNT_8ArgumentE
                                        ; -- End function
	.section	.AMDGPU.csdata,"",@progbits
; Kernel info:
; codeLenInByte = 4
; NumSgprs: 4
; NumVgprs: 0
; NumAgprs: 0
; TotalNumVgprs: 0
; ScratchSize: 0
; MemoryBound: 0
; FloatMode: 240
; IeeeMode: 1
; LDSByteSize: 0 bytes/workgroup (compile time only)
; SGPRBlocks: 0
; VGPRBlocks: 0
; NumSGPRsForWavesPerEU: 4
; NumVGPRsForWavesPerEU: 1
; AccumOffset: 4
; Occupancy: 8
; WaveLimiterHint : 0
; COMPUTE_PGM_RSRC2:SCRATCH_EN: 0
; COMPUTE_PGM_RSRC2:USER_SGPR: 6
; COMPUTE_PGM_RSRC2:TRAP_HANDLER: 0
; COMPUTE_PGM_RSRC2:TGID_X_EN: 1
; COMPUTE_PGM_RSRC2:TGID_Y_EN: 0
; COMPUTE_PGM_RSRC2:TGID_Z_EN: 0
; COMPUTE_PGM_RSRC2:TIDIG_COMP_CNT: 0
; COMPUTE_PGM_RSRC3_GFX90A:ACCUM_OFFSET: 0
; COMPUTE_PGM_RSRC3_GFX90A:TG_SPLIT: 0
	.section	.text._ZN2ck27kernel_gemm_xdl_cshuffle_v3INS_28GridwiseGemm_xdl_cshuffle_v3INS_13tensor_layout4gemm8RowMajorENS3_11ColumnMajorES4_DF16_DF16_fDF16_DF16_NS_16tensor_operation12element_wise11PassThroughES8_S8_LNS6_6device18GemmSpecializationE4ELi64ELi32ELi32ELi256ELi8ELi8ELi16ELi16ELi2ELi1ENS_8SequenceIJLi32ELi2ELi1EEEENSB_IJLi1ELi0ELi2EEEESD_Li2ELi8ELi8ELb0ELi0ESC_SD_SD_Li2ELi8ELi8ELb0ELi0ELi1ELi1ENSB_IJLi1ELi16ELi1ELi4EEEELi4ELNS_26BlockGemmPipelineSchedulerE1ELNS_24BlockGemmPipelineVersionE1EDF16_DF16_Lb0ELb0ELb0ELi0ELb0EEELb1ELNS_25InMemoryDataOperationEnumE0ELi2ELNS_10TailNumberE10EEEvNT_8ArgumentE,"axG",@progbits,_ZN2ck27kernel_gemm_xdl_cshuffle_v3INS_28GridwiseGemm_xdl_cshuffle_v3INS_13tensor_layout4gemm8RowMajorENS3_11ColumnMajorES4_DF16_DF16_fDF16_DF16_NS_16tensor_operation12element_wise11PassThroughES8_S8_LNS6_6device18GemmSpecializationE4ELi64ELi32ELi32ELi256ELi8ELi8ELi16ELi16ELi2ELi1ENS_8SequenceIJLi32ELi2ELi1EEEENSB_IJLi1ELi0ELi2EEEESD_Li2ELi8ELi8ELb0ELi0ESC_SD_SD_Li2ELi8ELi8ELb0ELi0ELi1ELi1ENSB_IJLi1ELi16ELi1ELi4EEEELi4ELNS_26BlockGemmPipelineSchedulerE1ELNS_24BlockGemmPipelineVersionE1EDF16_DF16_Lb0ELb0ELb0ELi0ELb0EEELb1ELNS_25InMemoryDataOperationEnumE0ELi2ELNS_10TailNumberE10EEEvNT_8ArgumentE,comdat
	.protected	_ZN2ck27kernel_gemm_xdl_cshuffle_v3INS_28GridwiseGemm_xdl_cshuffle_v3INS_13tensor_layout4gemm8RowMajorENS3_11ColumnMajorES4_DF16_DF16_fDF16_DF16_NS_16tensor_operation12element_wise11PassThroughES8_S8_LNS6_6device18GemmSpecializationE4ELi64ELi32ELi32ELi256ELi8ELi8ELi16ELi16ELi2ELi1ENS_8SequenceIJLi32ELi2ELi1EEEENSB_IJLi1ELi0ELi2EEEESD_Li2ELi8ELi8ELb0ELi0ESC_SD_SD_Li2ELi8ELi8ELb0ELi0ELi1ELi1ENSB_IJLi1ELi16ELi1ELi4EEEELi4ELNS_26BlockGemmPipelineSchedulerE1ELNS_24BlockGemmPipelineVersionE1EDF16_DF16_Lb0ELb0ELb0ELi0ELb0EEELb1ELNS_25InMemoryDataOperationEnumE0ELi2ELNS_10TailNumberE10EEEvNT_8ArgumentE ; -- Begin function _ZN2ck27kernel_gemm_xdl_cshuffle_v3INS_28GridwiseGemm_xdl_cshuffle_v3INS_13tensor_layout4gemm8RowMajorENS3_11ColumnMajorES4_DF16_DF16_fDF16_DF16_NS_16tensor_operation12element_wise11PassThroughES8_S8_LNS6_6device18GemmSpecializationE4ELi64ELi32ELi32ELi256ELi8ELi8ELi16ELi16ELi2ELi1ENS_8SequenceIJLi32ELi2ELi1EEEENSB_IJLi1ELi0ELi2EEEESD_Li2ELi8ELi8ELb0ELi0ESC_SD_SD_Li2ELi8ELi8ELb0ELi0ELi1ELi1ENSB_IJLi1ELi16ELi1ELi4EEEELi4ELNS_26BlockGemmPipelineSchedulerE1ELNS_24BlockGemmPipelineVersionE1EDF16_DF16_Lb0ELb0ELb0ELi0ELb0EEELb1ELNS_25InMemoryDataOperationEnumE0ELi2ELNS_10TailNumberE10EEEvNT_8ArgumentE
	.globl	_ZN2ck27kernel_gemm_xdl_cshuffle_v3INS_28GridwiseGemm_xdl_cshuffle_v3INS_13tensor_layout4gemm8RowMajorENS3_11ColumnMajorES4_DF16_DF16_fDF16_DF16_NS_16tensor_operation12element_wise11PassThroughES8_S8_LNS6_6device18GemmSpecializationE4ELi64ELi32ELi32ELi256ELi8ELi8ELi16ELi16ELi2ELi1ENS_8SequenceIJLi32ELi2ELi1EEEENSB_IJLi1ELi0ELi2EEEESD_Li2ELi8ELi8ELb0ELi0ESC_SD_SD_Li2ELi8ELi8ELb0ELi0ELi1ELi1ENSB_IJLi1ELi16ELi1ELi4EEEELi4ELNS_26BlockGemmPipelineSchedulerE1ELNS_24BlockGemmPipelineVersionE1EDF16_DF16_Lb0ELb0ELb0ELi0ELb0EEELb1ELNS_25InMemoryDataOperationEnumE0ELi2ELNS_10TailNumberE10EEEvNT_8ArgumentE
	.p2align	8
	.type	_ZN2ck27kernel_gemm_xdl_cshuffle_v3INS_28GridwiseGemm_xdl_cshuffle_v3INS_13tensor_layout4gemm8RowMajorENS3_11ColumnMajorES4_DF16_DF16_fDF16_DF16_NS_16tensor_operation12element_wise11PassThroughES8_S8_LNS6_6device18GemmSpecializationE4ELi64ELi32ELi32ELi256ELi8ELi8ELi16ELi16ELi2ELi1ENS_8SequenceIJLi32ELi2ELi1EEEENSB_IJLi1ELi0ELi2EEEESD_Li2ELi8ELi8ELb0ELi0ESC_SD_SD_Li2ELi8ELi8ELb0ELi0ELi1ELi1ENSB_IJLi1ELi16ELi1ELi4EEEELi4ELNS_26BlockGemmPipelineSchedulerE1ELNS_24BlockGemmPipelineVersionE1EDF16_DF16_Lb0ELb0ELb0ELi0ELb0EEELb1ELNS_25InMemoryDataOperationEnumE0ELi2ELNS_10TailNumberE10EEEvNT_8ArgumentE,@function
_ZN2ck27kernel_gemm_xdl_cshuffle_v3INS_28GridwiseGemm_xdl_cshuffle_v3INS_13tensor_layout4gemm8RowMajorENS3_11ColumnMajorES4_DF16_DF16_fDF16_DF16_NS_16tensor_operation12element_wise11PassThroughES8_S8_LNS6_6device18GemmSpecializationE4ELi64ELi32ELi32ELi256ELi8ELi8ELi16ELi16ELi2ELi1ENS_8SequenceIJLi32ELi2ELi1EEEENSB_IJLi1ELi0ELi2EEEESD_Li2ELi8ELi8ELb0ELi0ESC_SD_SD_Li2ELi8ELi8ELb0ELi0ELi1ELi1ENSB_IJLi1ELi16ELi1ELi4EEEELi4ELNS_26BlockGemmPipelineSchedulerE1ELNS_24BlockGemmPipelineVersionE1EDF16_DF16_Lb0ELb0ELb0ELi0ELb0EEELb1ELNS_25InMemoryDataOperationEnumE0ELi2ELNS_10TailNumberE10EEEvNT_8ArgumentE: ; @_ZN2ck27kernel_gemm_xdl_cshuffle_v3INS_28GridwiseGemm_xdl_cshuffle_v3INS_13tensor_layout4gemm8RowMajorENS3_11ColumnMajorES4_DF16_DF16_fDF16_DF16_NS_16tensor_operation12element_wise11PassThroughES8_S8_LNS6_6device18GemmSpecializationE4ELi64ELi32ELi32ELi256ELi8ELi8ELi16ELi16ELi2ELi1ENS_8SequenceIJLi32ELi2ELi1EEEENSB_IJLi1ELi0ELi2EEEESD_Li2ELi8ELi8ELb0ELi0ESC_SD_SD_Li2ELi8ELi8ELb0ELi0ELi1ELi1ENSB_IJLi1ELi16ELi1ELi4EEEELi4ELNS_26BlockGemmPipelineSchedulerE1ELNS_24BlockGemmPipelineVersionE1EDF16_DF16_Lb0ELb0ELb0ELi0ELb0EEELb1ELNS_25InMemoryDataOperationEnumE0ELi2ELNS_10TailNumberE10EEEvNT_8ArgumentE
; %bb.0:
	s_endpgm
	.section	.rodata,"a",@progbits
	.p2align	6, 0x0
	.amdhsa_kernel _ZN2ck27kernel_gemm_xdl_cshuffle_v3INS_28GridwiseGemm_xdl_cshuffle_v3INS_13tensor_layout4gemm8RowMajorENS3_11ColumnMajorES4_DF16_DF16_fDF16_DF16_NS_16tensor_operation12element_wise11PassThroughES8_S8_LNS6_6device18GemmSpecializationE4ELi64ELi32ELi32ELi256ELi8ELi8ELi16ELi16ELi2ELi1ENS_8SequenceIJLi32ELi2ELi1EEEENSB_IJLi1ELi0ELi2EEEESD_Li2ELi8ELi8ELb0ELi0ESC_SD_SD_Li2ELi8ELi8ELb0ELi0ELi1ELi1ENSB_IJLi1ELi16ELi1ELi4EEEELi4ELNS_26BlockGemmPipelineSchedulerE1ELNS_24BlockGemmPipelineVersionE1EDF16_DF16_Lb0ELb0ELb0ELi0ELb0EEELb1ELNS_25InMemoryDataOperationEnumE0ELi2ELNS_10TailNumberE10EEEvNT_8ArgumentE
		.amdhsa_group_segment_fixed_size 0
		.amdhsa_private_segment_fixed_size 0
		.amdhsa_kernarg_size 112
		.amdhsa_user_sgpr_count 6
		.amdhsa_user_sgpr_private_segment_buffer 1
		.amdhsa_user_sgpr_dispatch_ptr 0
		.amdhsa_user_sgpr_queue_ptr 0
		.amdhsa_user_sgpr_kernarg_segment_ptr 1
		.amdhsa_user_sgpr_dispatch_id 0
		.amdhsa_user_sgpr_flat_scratch_init 0
		.amdhsa_user_sgpr_kernarg_preload_length 0
		.amdhsa_user_sgpr_kernarg_preload_offset 0
		.amdhsa_user_sgpr_private_segment_size 0
		.amdhsa_uses_dynamic_stack 0
		.amdhsa_system_sgpr_private_segment_wavefront_offset 0
		.amdhsa_system_sgpr_workgroup_id_x 1
		.amdhsa_system_sgpr_workgroup_id_y 0
		.amdhsa_system_sgpr_workgroup_id_z 0
		.amdhsa_system_sgpr_workgroup_info 0
		.amdhsa_system_vgpr_workitem_id 0
		.amdhsa_next_free_vgpr 1
		.amdhsa_next_free_sgpr 0
		.amdhsa_accum_offset 4
		.amdhsa_reserve_vcc 0
		.amdhsa_reserve_flat_scratch 0
		.amdhsa_float_round_mode_32 0
		.amdhsa_float_round_mode_16_64 0
		.amdhsa_float_denorm_mode_32 3
		.amdhsa_float_denorm_mode_16_64 3
		.amdhsa_dx10_clamp 1
		.amdhsa_ieee_mode 1
		.amdhsa_fp16_overflow 0
		.amdhsa_tg_split 0
		.amdhsa_exception_fp_ieee_invalid_op 0
		.amdhsa_exception_fp_denorm_src 0
		.amdhsa_exception_fp_ieee_div_zero 0
		.amdhsa_exception_fp_ieee_overflow 0
		.amdhsa_exception_fp_ieee_underflow 0
		.amdhsa_exception_fp_ieee_inexact 0
		.amdhsa_exception_int_div_zero 0
	.end_amdhsa_kernel
	.section	.text._ZN2ck27kernel_gemm_xdl_cshuffle_v3INS_28GridwiseGemm_xdl_cshuffle_v3INS_13tensor_layout4gemm8RowMajorENS3_11ColumnMajorES4_DF16_DF16_fDF16_DF16_NS_16tensor_operation12element_wise11PassThroughES8_S8_LNS6_6device18GemmSpecializationE4ELi64ELi32ELi32ELi256ELi8ELi8ELi16ELi16ELi2ELi1ENS_8SequenceIJLi32ELi2ELi1EEEENSB_IJLi1ELi0ELi2EEEESD_Li2ELi8ELi8ELb0ELi0ESC_SD_SD_Li2ELi8ELi8ELb0ELi0ELi1ELi1ENSB_IJLi1ELi16ELi1ELi4EEEELi4ELNS_26BlockGemmPipelineSchedulerE1ELNS_24BlockGemmPipelineVersionE1EDF16_DF16_Lb0ELb0ELb0ELi0ELb0EEELb1ELNS_25InMemoryDataOperationEnumE0ELi2ELNS_10TailNumberE10EEEvNT_8ArgumentE,"axG",@progbits,_ZN2ck27kernel_gemm_xdl_cshuffle_v3INS_28GridwiseGemm_xdl_cshuffle_v3INS_13tensor_layout4gemm8RowMajorENS3_11ColumnMajorES4_DF16_DF16_fDF16_DF16_NS_16tensor_operation12element_wise11PassThroughES8_S8_LNS6_6device18GemmSpecializationE4ELi64ELi32ELi32ELi256ELi8ELi8ELi16ELi16ELi2ELi1ENS_8SequenceIJLi32ELi2ELi1EEEENSB_IJLi1ELi0ELi2EEEESD_Li2ELi8ELi8ELb0ELi0ESC_SD_SD_Li2ELi8ELi8ELb0ELi0ELi1ELi1ENSB_IJLi1ELi16ELi1ELi4EEEELi4ELNS_26BlockGemmPipelineSchedulerE1ELNS_24BlockGemmPipelineVersionE1EDF16_DF16_Lb0ELb0ELb0ELi0ELb0EEELb1ELNS_25InMemoryDataOperationEnumE0ELi2ELNS_10TailNumberE10EEEvNT_8ArgumentE,comdat
.Lfunc_end8:
	.size	_ZN2ck27kernel_gemm_xdl_cshuffle_v3INS_28GridwiseGemm_xdl_cshuffle_v3INS_13tensor_layout4gemm8RowMajorENS3_11ColumnMajorES4_DF16_DF16_fDF16_DF16_NS_16tensor_operation12element_wise11PassThroughES8_S8_LNS6_6device18GemmSpecializationE4ELi64ELi32ELi32ELi256ELi8ELi8ELi16ELi16ELi2ELi1ENS_8SequenceIJLi32ELi2ELi1EEEENSB_IJLi1ELi0ELi2EEEESD_Li2ELi8ELi8ELb0ELi0ESC_SD_SD_Li2ELi8ELi8ELb0ELi0ELi1ELi1ENSB_IJLi1ELi16ELi1ELi4EEEELi4ELNS_26BlockGemmPipelineSchedulerE1ELNS_24BlockGemmPipelineVersionE1EDF16_DF16_Lb0ELb0ELb0ELi0ELb0EEELb1ELNS_25InMemoryDataOperationEnumE0ELi2ELNS_10TailNumberE10EEEvNT_8ArgumentE, .Lfunc_end8-_ZN2ck27kernel_gemm_xdl_cshuffle_v3INS_28GridwiseGemm_xdl_cshuffle_v3INS_13tensor_layout4gemm8RowMajorENS3_11ColumnMajorES4_DF16_DF16_fDF16_DF16_NS_16tensor_operation12element_wise11PassThroughES8_S8_LNS6_6device18GemmSpecializationE4ELi64ELi32ELi32ELi256ELi8ELi8ELi16ELi16ELi2ELi1ENS_8SequenceIJLi32ELi2ELi1EEEENSB_IJLi1ELi0ELi2EEEESD_Li2ELi8ELi8ELb0ELi0ESC_SD_SD_Li2ELi8ELi8ELb0ELi0ELi1ELi1ENSB_IJLi1ELi16ELi1ELi4EEEELi4ELNS_26BlockGemmPipelineSchedulerE1ELNS_24BlockGemmPipelineVersionE1EDF16_DF16_Lb0ELb0ELb0ELi0ELb0EEELb1ELNS_25InMemoryDataOperationEnumE0ELi2ELNS_10TailNumberE10EEEvNT_8ArgumentE
                                        ; -- End function
	.section	.AMDGPU.csdata,"",@progbits
; Kernel info:
; codeLenInByte = 4
; NumSgprs: 4
; NumVgprs: 0
; NumAgprs: 0
; TotalNumVgprs: 0
; ScratchSize: 0
; MemoryBound: 0
; FloatMode: 240
; IeeeMode: 1
; LDSByteSize: 0 bytes/workgroup (compile time only)
; SGPRBlocks: 0
; VGPRBlocks: 0
; NumSGPRsForWavesPerEU: 4
; NumVGPRsForWavesPerEU: 1
; AccumOffset: 4
; Occupancy: 8
; WaveLimiterHint : 0
; COMPUTE_PGM_RSRC2:SCRATCH_EN: 0
; COMPUTE_PGM_RSRC2:USER_SGPR: 6
; COMPUTE_PGM_RSRC2:TRAP_HANDLER: 0
; COMPUTE_PGM_RSRC2:TGID_X_EN: 1
; COMPUTE_PGM_RSRC2:TGID_Y_EN: 0
; COMPUTE_PGM_RSRC2:TGID_Z_EN: 0
; COMPUTE_PGM_RSRC2:TIDIG_COMP_CNT: 0
; COMPUTE_PGM_RSRC3_GFX90A:ACCUM_OFFSET: 0
; COMPUTE_PGM_RSRC3_GFX90A:TG_SPLIT: 0
	.text
	.p2alignl 6, 3212836864
	.fill 256, 4, 3212836864
	.type	__hip_cuid_c83e8d718c183b1b,@object ; @__hip_cuid_c83e8d718c183b1b
	.section	.bss,"aw",@nobits
	.globl	__hip_cuid_c83e8d718c183b1b
__hip_cuid_c83e8d718c183b1b:
	.byte	0                               ; 0x0
	.size	__hip_cuid_c83e8d718c183b1b, 1

	.ident	"AMD clang version 19.0.0git (https://github.com/RadeonOpenCompute/llvm-project roc-6.4.0 25133 c7fe45cf4b819c5991fe208aaa96edf142730f1d)"
	.section	".note.GNU-stack","",@progbits
	.addrsig
	.addrsig_sym __hip_cuid_c83e8d718c183b1b
	.amdgpu_metadata
---
amdhsa.kernels:
  - .agpr_count:     0
    .args:           []
    .group_segment_fixed_size: 0
    .kernarg_segment_align: 4
    .kernarg_segment_size: 0
    .language:       OpenCL C
    .language_version:
      - 2
      - 0
    .max_flat_workgroup_size: 1024
    .name:           _ZN2ckL12flush_icacheEv
    .private_segment_fixed_size: 0
    .sgpr_count:     4
    .sgpr_spill_count: 0
    .symbol:         _ZN2ckL12flush_icacheEv.kd
    .uniform_work_group_size: 1
    .uses_dynamic_stack: false
    .vgpr_count:     0
    .vgpr_spill_count: 0
    .wavefront_size: 64
  - .agpr_count:     0
    .args:
      - .offset:         0
        .size:           112
        .value_kind:     by_value
    .group_segment_fixed_size: 32768
    .kernarg_segment_align: 8
    .kernarg_segment_size: 112
    .language:       OpenCL C
    .language_version:
      - 2
      - 0
    .max_flat_workgroup_size: 64
    .name:           _ZN2ck27kernel_gemm_xdl_cshuffle_v3INS_28GridwiseGemm_xdl_cshuffle_v3INS_13tensor_layout4gemm8RowMajorENS3_11ColumnMajorES4_DF16_DF16_fDF16_DF16_NS_16tensor_operation12element_wise11PassThroughES8_S8_LNS6_6device18GemmSpecializationE4ELi64ELi32ELi32ELi256ELi8ELi8ELi16ELi16ELi2ELi2ENS_8SequenceIJLi32ELi2ELi1EEEENSB_IJLi1ELi0ELi2EEEESD_Li2ELi8ELi8ELb0ELi0ESC_SD_SD_Li2ELi8ELi8ELb0ELi0ELi1ELi1ENSB_IJLi1ELi16ELi1ELi4EEEELi4ELNS_26BlockGemmPipelineSchedulerE1ELNS_24BlockGemmPipelineVersionE1EDF16_DF16_Lb0ELb0ELb0ELi0ELb0EEELb1ELNS_25InMemoryDataOperationEnumE1ELi2ELNS_10TailNumberE2EEEvNT_8ArgumentE
    .private_segment_fixed_size: 708
    .sgpr_count:     96
    .sgpr_spill_count: 0
    .symbol:         _ZN2ck27kernel_gemm_xdl_cshuffle_v3INS_28GridwiseGemm_xdl_cshuffle_v3INS_13tensor_layout4gemm8RowMajorENS3_11ColumnMajorES4_DF16_DF16_fDF16_DF16_NS_16tensor_operation12element_wise11PassThroughES8_S8_LNS6_6device18GemmSpecializationE4ELi64ELi32ELi32ELi256ELi8ELi8ELi16ELi16ELi2ELi2ENS_8SequenceIJLi32ELi2ELi1EEEENSB_IJLi1ELi0ELi2EEEESD_Li2ELi8ELi8ELb0ELi0ESC_SD_SD_Li2ELi8ELi8ELb0ELi0ELi1ELi1ENSB_IJLi1ELi16ELi1ELi4EEEELi4ELNS_26BlockGemmPipelineSchedulerE1ELNS_24BlockGemmPipelineVersionE1EDF16_DF16_Lb0ELb0ELb0ELi0ELb0EEELb1ELNS_25InMemoryDataOperationEnumE1ELi2ELNS_10TailNumberE2EEEvNT_8ArgumentE.kd
    .uniform_work_group_size: 1
    .uses_dynamic_stack: false
    .vgpr_count:     256
    .vgpr_spill_count: 225
    .wavefront_size: 64
  - .agpr_count:     0
    .args:
      - .offset:         0
        .size:           112
        .value_kind:     by_value
    .group_segment_fixed_size: 32768
    .kernarg_segment_align: 8
    .kernarg_segment_size: 112
    .language:       OpenCL C
    .language_version:
      - 2
      - 0
    .max_flat_workgroup_size: 64
    .name:           _ZN2ck27kernel_gemm_xdl_cshuffle_v3INS_28GridwiseGemm_xdl_cshuffle_v3INS_13tensor_layout4gemm8RowMajorENS3_11ColumnMajorES4_DF16_DF16_fDF16_DF16_NS_16tensor_operation12element_wise11PassThroughES8_S8_LNS6_6device18GemmSpecializationE4ELi64ELi32ELi32ELi256ELi8ELi8ELi16ELi16ELi2ELi2ENS_8SequenceIJLi32ELi2ELi1EEEENSB_IJLi1ELi0ELi2EEEESD_Li2ELi8ELi8ELb0ELi0ESC_SD_SD_Li2ELi8ELi8ELb0ELi0ELi1ELi1ENSB_IJLi1ELi16ELi1ELi4EEEELi4ELNS_26BlockGemmPipelineSchedulerE1ELNS_24BlockGemmPipelineVersionE1EDF16_DF16_Lb0ELb0ELb0ELi0ELb0EEELb1ELNS_25InMemoryDataOperationEnumE1ELi2ELNS_10TailNumberE10EEEvNT_8ArgumentE
    .private_segment_fixed_size: 784
    .sgpr_count:     96
    .sgpr_spill_count: 0
    .symbol:         _ZN2ck27kernel_gemm_xdl_cshuffle_v3INS_28GridwiseGemm_xdl_cshuffle_v3INS_13tensor_layout4gemm8RowMajorENS3_11ColumnMajorES4_DF16_DF16_fDF16_DF16_NS_16tensor_operation12element_wise11PassThroughES8_S8_LNS6_6device18GemmSpecializationE4ELi64ELi32ELi32ELi256ELi8ELi8ELi16ELi16ELi2ELi2ENS_8SequenceIJLi32ELi2ELi1EEEENSB_IJLi1ELi0ELi2EEEESD_Li2ELi8ELi8ELb0ELi0ESC_SD_SD_Li2ELi8ELi8ELb0ELi0ELi1ELi1ENSB_IJLi1ELi16ELi1ELi4EEEELi4ELNS_26BlockGemmPipelineSchedulerE1ELNS_24BlockGemmPipelineVersionE1EDF16_DF16_Lb0ELb0ELb0ELi0ELb0EEELb1ELNS_25InMemoryDataOperationEnumE1ELi2ELNS_10TailNumberE10EEEvNT_8ArgumentE.kd
    .uniform_work_group_size: 1
    .uses_dynamic_stack: false
    .vgpr_count:     256
    .vgpr_spill_count: 293
    .wavefront_size: 64
  - .agpr_count:     0
    .args:
      - .offset:         0
        .size:           112
        .value_kind:     by_value
    .group_segment_fixed_size: 32768
    .kernarg_segment_align: 8
    .kernarg_segment_size: 112
    .language:       OpenCL C
    .language_version:
      - 2
      - 0
    .max_flat_workgroup_size: 64
    .name:           _ZN2ck27kernel_gemm_xdl_cshuffle_v3INS_28GridwiseGemm_xdl_cshuffle_v3INS_13tensor_layout4gemm8RowMajorENS3_11ColumnMajorES4_DF16_DF16_fDF16_DF16_NS_16tensor_operation12element_wise11PassThroughES8_S8_LNS6_6device18GemmSpecializationE4ELi64ELi32ELi32ELi256ELi8ELi8ELi16ELi16ELi2ELi2ENS_8SequenceIJLi32ELi2ELi1EEEENSB_IJLi1ELi0ELi2EEEESD_Li2ELi8ELi8ELb0ELi0ESC_SD_SD_Li2ELi8ELi8ELb0ELi0ELi1ELi1ENSB_IJLi1ELi16ELi1ELi4EEEELi4ELNS_26BlockGemmPipelineSchedulerE1ELNS_24BlockGemmPipelineVersionE1EDF16_DF16_Lb0ELb0ELb0ELi0ELb0EEELb1ELNS_25InMemoryDataOperationEnumE0ELi2ELNS_10TailNumberE2EEEvNT_8ArgumentE
    .private_segment_fixed_size: 708
    .sgpr_count:     96
    .sgpr_spill_count: 0
    .symbol:         _ZN2ck27kernel_gemm_xdl_cshuffle_v3INS_28GridwiseGemm_xdl_cshuffle_v3INS_13tensor_layout4gemm8RowMajorENS3_11ColumnMajorES4_DF16_DF16_fDF16_DF16_NS_16tensor_operation12element_wise11PassThroughES8_S8_LNS6_6device18GemmSpecializationE4ELi64ELi32ELi32ELi256ELi8ELi8ELi16ELi16ELi2ELi2ENS_8SequenceIJLi32ELi2ELi1EEEENSB_IJLi1ELi0ELi2EEEESD_Li2ELi8ELi8ELb0ELi0ESC_SD_SD_Li2ELi8ELi8ELb0ELi0ELi1ELi1ENSB_IJLi1ELi16ELi1ELi4EEEELi4ELNS_26BlockGemmPipelineSchedulerE1ELNS_24BlockGemmPipelineVersionE1EDF16_DF16_Lb0ELb0ELb0ELi0ELb0EEELb1ELNS_25InMemoryDataOperationEnumE0ELi2ELNS_10TailNumberE2EEEvNT_8ArgumentE.kd
    .uniform_work_group_size: 1
    .uses_dynamic_stack: false
    .vgpr_count:     256
    .vgpr_spill_count: 225
    .wavefront_size: 64
  - .agpr_count:     0
    .args:
      - .offset:         0
        .size:           112
        .value_kind:     by_value
    .group_segment_fixed_size: 32768
    .kernarg_segment_align: 8
    .kernarg_segment_size: 112
    .language:       OpenCL C
    .language_version:
      - 2
      - 0
    .max_flat_workgroup_size: 64
    .name:           _ZN2ck27kernel_gemm_xdl_cshuffle_v3INS_28GridwiseGemm_xdl_cshuffle_v3INS_13tensor_layout4gemm8RowMajorENS3_11ColumnMajorES4_DF16_DF16_fDF16_DF16_NS_16tensor_operation12element_wise11PassThroughES8_S8_LNS6_6device18GemmSpecializationE4ELi64ELi32ELi32ELi256ELi8ELi8ELi16ELi16ELi2ELi2ENS_8SequenceIJLi32ELi2ELi1EEEENSB_IJLi1ELi0ELi2EEEESD_Li2ELi8ELi8ELb0ELi0ESC_SD_SD_Li2ELi8ELi8ELb0ELi0ELi1ELi1ENSB_IJLi1ELi16ELi1ELi4EEEELi4ELNS_26BlockGemmPipelineSchedulerE1ELNS_24BlockGemmPipelineVersionE1EDF16_DF16_Lb0ELb0ELb0ELi0ELb0EEELb1ELNS_25InMemoryDataOperationEnumE0ELi2ELNS_10TailNumberE10EEEvNT_8ArgumentE
    .private_segment_fixed_size: 784
    .sgpr_count:     96
    .sgpr_spill_count: 0
    .symbol:         _ZN2ck27kernel_gemm_xdl_cshuffle_v3INS_28GridwiseGemm_xdl_cshuffle_v3INS_13tensor_layout4gemm8RowMajorENS3_11ColumnMajorES4_DF16_DF16_fDF16_DF16_NS_16tensor_operation12element_wise11PassThroughES8_S8_LNS6_6device18GemmSpecializationE4ELi64ELi32ELi32ELi256ELi8ELi8ELi16ELi16ELi2ELi2ENS_8SequenceIJLi32ELi2ELi1EEEENSB_IJLi1ELi0ELi2EEEESD_Li2ELi8ELi8ELb0ELi0ESC_SD_SD_Li2ELi8ELi8ELb0ELi0ELi1ELi1ENSB_IJLi1ELi16ELi1ELi4EEEELi4ELNS_26BlockGemmPipelineSchedulerE1ELNS_24BlockGemmPipelineVersionE1EDF16_DF16_Lb0ELb0ELb0ELi0ELb0EEELb1ELNS_25InMemoryDataOperationEnumE0ELi2ELNS_10TailNumberE10EEEvNT_8ArgumentE.kd
    .uniform_work_group_size: 1
    .uses_dynamic_stack: false
    .vgpr_count:     256
    .vgpr_spill_count: 293
    .wavefront_size: 64
  - .agpr_count:     0
    .args:
      - .offset:         0
        .size:           112
        .value_kind:     by_value
    .group_segment_fixed_size: 0
    .kernarg_segment_align: 8
    .kernarg_segment_size: 112
    .language:       OpenCL C
    .language_version:
      - 2
      - 0
    .max_flat_workgroup_size: 64
    .name:           _ZN2ck27kernel_gemm_xdl_cshuffle_v3INS_28GridwiseGemm_xdl_cshuffle_v3INS_13tensor_layout4gemm8RowMajorENS3_11ColumnMajorES4_DF16_DF16_fDF16_DF16_NS_16tensor_operation12element_wise11PassThroughES8_S8_LNS6_6device18GemmSpecializationE4ELi64ELi32ELi32ELi256ELi8ELi8ELi16ELi16ELi2ELi1ENS_8SequenceIJLi32ELi2ELi1EEEENSB_IJLi1ELi0ELi2EEEESD_Li2ELi8ELi8ELb0ELi0ESC_SD_SD_Li2ELi8ELi8ELb0ELi0ELi1ELi1ENSB_IJLi1ELi16ELi1ELi4EEEELi4ELNS_26BlockGemmPipelineSchedulerE1ELNS_24BlockGemmPipelineVersionE1EDF16_DF16_Lb0ELb0ELb0ELi0ELb0EEELb1ELNS_25InMemoryDataOperationEnumE1ELi2ELNS_10TailNumberE2EEEvNT_8ArgumentE
    .private_segment_fixed_size: 0
    .sgpr_count:     4
    .sgpr_spill_count: 0
    .symbol:         _ZN2ck27kernel_gemm_xdl_cshuffle_v3INS_28GridwiseGemm_xdl_cshuffle_v3INS_13tensor_layout4gemm8RowMajorENS3_11ColumnMajorES4_DF16_DF16_fDF16_DF16_NS_16tensor_operation12element_wise11PassThroughES8_S8_LNS6_6device18GemmSpecializationE4ELi64ELi32ELi32ELi256ELi8ELi8ELi16ELi16ELi2ELi1ENS_8SequenceIJLi32ELi2ELi1EEEENSB_IJLi1ELi0ELi2EEEESD_Li2ELi8ELi8ELb0ELi0ESC_SD_SD_Li2ELi8ELi8ELb0ELi0ELi1ELi1ENSB_IJLi1ELi16ELi1ELi4EEEELi4ELNS_26BlockGemmPipelineSchedulerE1ELNS_24BlockGemmPipelineVersionE1EDF16_DF16_Lb0ELb0ELb0ELi0ELb0EEELb1ELNS_25InMemoryDataOperationEnumE1ELi2ELNS_10TailNumberE2EEEvNT_8ArgumentE.kd
    .uniform_work_group_size: 1
    .uses_dynamic_stack: false
    .vgpr_count:     0
    .vgpr_spill_count: 0
    .wavefront_size: 64
  - .agpr_count:     0
    .args:
      - .offset:         0
        .size:           112
        .value_kind:     by_value
    .group_segment_fixed_size: 0
    .kernarg_segment_align: 8
    .kernarg_segment_size: 112
    .language:       OpenCL C
    .language_version:
      - 2
      - 0
    .max_flat_workgroup_size: 64
    .name:           _ZN2ck27kernel_gemm_xdl_cshuffle_v3INS_28GridwiseGemm_xdl_cshuffle_v3INS_13tensor_layout4gemm8RowMajorENS3_11ColumnMajorES4_DF16_DF16_fDF16_DF16_NS_16tensor_operation12element_wise11PassThroughES8_S8_LNS6_6device18GemmSpecializationE4ELi64ELi32ELi32ELi256ELi8ELi8ELi16ELi16ELi2ELi1ENS_8SequenceIJLi32ELi2ELi1EEEENSB_IJLi1ELi0ELi2EEEESD_Li2ELi8ELi8ELb0ELi0ESC_SD_SD_Li2ELi8ELi8ELb0ELi0ELi1ELi1ENSB_IJLi1ELi16ELi1ELi4EEEELi4ELNS_26BlockGemmPipelineSchedulerE1ELNS_24BlockGemmPipelineVersionE1EDF16_DF16_Lb0ELb0ELb0ELi0ELb0EEELb1ELNS_25InMemoryDataOperationEnumE1ELi2ELNS_10TailNumberE10EEEvNT_8ArgumentE
    .private_segment_fixed_size: 0
    .sgpr_count:     4
    .sgpr_spill_count: 0
    .symbol:         _ZN2ck27kernel_gemm_xdl_cshuffle_v3INS_28GridwiseGemm_xdl_cshuffle_v3INS_13tensor_layout4gemm8RowMajorENS3_11ColumnMajorES4_DF16_DF16_fDF16_DF16_NS_16tensor_operation12element_wise11PassThroughES8_S8_LNS6_6device18GemmSpecializationE4ELi64ELi32ELi32ELi256ELi8ELi8ELi16ELi16ELi2ELi1ENS_8SequenceIJLi32ELi2ELi1EEEENSB_IJLi1ELi0ELi2EEEESD_Li2ELi8ELi8ELb0ELi0ESC_SD_SD_Li2ELi8ELi8ELb0ELi0ELi1ELi1ENSB_IJLi1ELi16ELi1ELi4EEEELi4ELNS_26BlockGemmPipelineSchedulerE1ELNS_24BlockGemmPipelineVersionE1EDF16_DF16_Lb0ELb0ELb0ELi0ELb0EEELb1ELNS_25InMemoryDataOperationEnumE1ELi2ELNS_10TailNumberE10EEEvNT_8ArgumentE.kd
    .uniform_work_group_size: 1
    .uses_dynamic_stack: false
    .vgpr_count:     0
    .vgpr_spill_count: 0
    .wavefront_size: 64
  - .agpr_count:     0
    .args:
      - .offset:         0
        .size:           112
        .value_kind:     by_value
    .group_segment_fixed_size: 0
    .kernarg_segment_align: 8
    .kernarg_segment_size: 112
    .language:       OpenCL C
    .language_version:
      - 2
      - 0
    .max_flat_workgroup_size: 64
    .name:           _ZN2ck27kernel_gemm_xdl_cshuffle_v3INS_28GridwiseGemm_xdl_cshuffle_v3INS_13tensor_layout4gemm8RowMajorENS3_11ColumnMajorES4_DF16_DF16_fDF16_DF16_NS_16tensor_operation12element_wise11PassThroughES8_S8_LNS6_6device18GemmSpecializationE4ELi64ELi32ELi32ELi256ELi8ELi8ELi16ELi16ELi2ELi1ENS_8SequenceIJLi32ELi2ELi1EEEENSB_IJLi1ELi0ELi2EEEESD_Li2ELi8ELi8ELb0ELi0ESC_SD_SD_Li2ELi8ELi8ELb0ELi0ELi1ELi1ENSB_IJLi1ELi16ELi1ELi4EEEELi4ELNS_26BlockGemmPipelineSchedulerE1ELNS_24BlockGemmPipelineVersionE1EDF16_DF16_Lb0ELb0ELb0ELi0ELb0EEELb1ELNS_25InMemoryDataOperationEnumE0ELi2ELNS_10TailNumberE2EEEvNT_8ArgumentE
    .private_segment_fixed_size: 0
    .sgpr_count:     4
    .sgpr_spill_count: 0
    .symbol:         _ZN2ck27kernel_gemm_xdl_cshuffle_v3INS_28GridwiseGemm_xdl_cshuffle_v3INS_13tensor_layout4gemm8RowMajorENS3_11ColumnMajorES4_DF16_DF16_fDF16_DF16_NS_16tensor_operation12element_wise11PassThroughES8_S8_LNS6_6device18GemmSpecializationE4ELi64ELi32ELi32ELi256ELi8ELi8ELi16ELi16ELi2ELi1ENS_8SequenceIJLi32ELi2ELi1EEEENSB_IJLi1ELi0ELi2EEEESD_Li2ELi8ELi8ELb0ELi0ESC_SD_SD_Li2ELi8ELi8ELb0ELi0ELi1ELi1ENSB_IJLi1ELi16ELi1ELi4EEEELi4ELNS_26BlockGemmPipelineSchedulerE1ELNS_24BlockGemmPipelineVersionE1EDF16_DF16_Lb0ELb0ELb0ELi0ELb0EEELb1ELNS_25InMemoryDataOperationEnumE0ELi2ELNS_10TailNumberE2EEEvNT_8ArgumentE.kd
    .uniform_work_group_size: 1
    .uses_dynamic_stack: false
    .vgpr_count:     0
    .vgpr_spill_count: 0
    .wavefront_size: 64
  - .agpr_count:     0
    .args:
      - .offset:         0
        .size:           112
        .value_kind:     by_value
    .group_segment_fixed_size: 0
    .kernarg_segment_align: 8
    .kernarg_segment_size: 112
    .language:       OpenCL C
    .language_version:
      - 2
      - 0
    .max_flat_workgroup_size: 64
    .name:           _ZN2ck27kernel_gemm_xdl_cshuffle_v3INS_28GridwiseGemm_xdl_cshuffle_v3INS_13tensor_layout4gemm8RowMajorENS3_11ColumnMajorES4_DF16_DF16_fDF16_DF16_NS_16tensor_operation12element_wise11PassThroughES8_S8_LNS6_6device18GemmSpecializationE4ELi64ELi32ELi32ELi256ELi8ELi8ELi16ELi16ELi2ELi1ENS_8SequenceIJLi32ELi2ELi1EEEENSB_IJLi1ELi0ELi2EEEESD_Li2ELi8ELi8ELb0ELi0ESC_SD_SD_Li2ELi8ELi8ELb0ELi0ELi1ELi1ENSB_IJLi1ELi16ELi1ELi4EEEELi4ELNS_26BlockGemmPipelineSchedulerE1ELNS_24BlockGemmPipelineVersionE1EDF16_DF16_Lb0ELb0ELb0ELi0ELb0EEELb1ELNS_25InMemoryDataOperationEnumE0ELi2ELNS_10TailNumberE10EEEvNT_8ArgumentE
    .private_segment_fixed_size: 0
    .sgpr_count:     4
    .sgpr_spill_count: 0
    .symbol:         _ZN2ck27kernel_gemm_xdl_cshuffle_v3INS_28GridwiseGemm_xdl_cshuffle_v3INS_13tensor_layout4gemm8RowMajorENS3_11ColumnMajorES4_DF16_DF16_fDF16_DF16_NS_16tensor_operation12element_wise11PassThroughES8_S8_LNS6_6device18GemmSpecializationE4ELi64ELi32ELi32ELi256ELi8ELi8ELi16ELi16ELi2ELi1ENS_8SequenceIJLi32ELi2ELi1EEEENSB_IJLi1ELi0ELi2EEEESD_Li2ELi8ELi8ELb0ELi0ESC_SD_SD_Li2ELi8ELi8ELb0ELi0ELi1ELi1ENSB_IJLi1ELi16ELi1ELi4EEEELi4ELNS_26BlockGemmPipelineSchedulerE1ELNS_24BlockGemmPipelineVersionE1EDF16_DF16_Lb0ELb0ELb0ELi0ELb0EEELb1ELNS_25InMemoryDataOperationEnumE0ELi2ELNS_10TailNumberE10EEEvNT_8ArgumentE.kd
    .uniform_work_group_size: 1
    .uses_dynamic_stack: false
    .vgpr_count:     0
    .vgpr_spill_count: 0
    .wavefront_size: 64
amdhsa.target:   amdgcn-amd-amdhsa--gfx90a
amdhsa.version:
  - 1
  - 2
...

	.end_amdgpu_metadata
